;; amdgpu-corpus repo=ROCm/rocFFT kind=compiled arch=gfx1201 opt=O3
	.text
	.amdgcn_target "amdgcn-amd-amdhsa--gfx1201"
	.amdhsa_code_object_version 6
	.protected	bluestein_single_fwd_len935_dim1_sp_op_CI_CI ; -- Begin function bluestein_single_fwd_len935_dim1_sp_op_CI_CI
	.globl	bluestein_single_fwd_len935_dim1_sp_op_CI_CI
	.p2align	8
	.type	bluestein_single_fwd_len935_dim1_sp_op_CI_CI,@function
bluestein_single_fwd_len935_dim1_sp_op_CI_CI: ; @bluestein_single_fwd_len935_dim1_sp_op_CI_CI
; %bb.0:
	s_load_b128 s[8:11], s[0:1], 0x28
	v_mul_u32_u24_e32 v1, 0x304, v0
	s_mov_b32 s2, exec_lo
	s_delay_alu instid0(VALU_DEP_1) | instskip(NEXT) | instid1(VALU_DEP_1)
	v_lshrrev_b32_e32 v1, 16, v1
	v_mad_co_u64_u32 v[84:85], null, ttmp9, 3, v[1:2]
	v_mov_b32_e32 v85, 0
	s_wait_kmcnt 0x0
	s_delay_alu instid0(VALU_DEP_1)
	v_cmpx_gt_u64_e64 s[8:9], v[84:85]
	s_cbranch_execz .LBB0_23
; %bb.1:
	v_mul_hi_u32 v2, 0xaaaaaaab, v84
	s_clause 0x1
	s_load_b64 s[8:9], s[0:1], 0x0
	s_load_b64 s[12:13], s[0:1], 0x38
	v_mul_lo_u16 v1, 0x55, v1
	s_delay_alu instid0(VALU_DEP_1) | instskip(NEXT) | instid1(VALU_DEP_3)
	v_sub_nc_u16 v0, v0, v1
	v_lshrrev_b32_e32 v2, 1, v2
	s_delay_alu instid0(VALU_DEP_2) | instskip(NEXT) | instid1(VALU_DEP_2)
	v_and_b32_e32 v98, 0xffff, v0
	v_lshl_add_u32 v2, v2, 1, v2
	v_cmp_gt_u16_e32 vcc_lo, 55, v0
	s_delay_alu instid0(VALU_DEP_3) | instskip(NEXT) | instid1(VALU_DEP_3)
	v_lshlrev_b32_e32 v97, 3, v98
	v_sub_nc_u32_e32 v1, v84, v2
	s_delay_alu instid0(VALU_DEP_1) | instskip(NEXT) | instid1(VALU_DEP_1)
	v_mul_u32_u24_e32 v99, 0x3a7, v1
	v_lshlrev_b32_e32 v100, 3, v99
	s_and_saveexec_b32 s3, vcc_lo
	s_cbranch_execz .LBB0_3
; %bb.2:
	s_load_b64 s[4:5], s[0:1], 0x18
	s_delay_alu instid0(VALU_DEP_1) | instskip(SKIP_1) | instid1(VALU_DEP_1)
	v_lshl_add_u32 v71, v98, 3, v100
	v_add_nc_u32_e32 v70, v100, v97
	v_add_nc_u32_e32 v72, 0x800, v70
	;; [unrolled: 1-line block ×3, first 2 shown]
	s_wait_kmcnt 0x0
	s_load_b128 s[4:7], s[4:5], 0x0
	s_wait_kmcnt 0x0
	v_mad_co_u64_u32 v[0:1], null, s6, v84, 0
	v_mad_co_u64_u32 v[2:3], null, s4, v98, 0
	s_delay_alu instid0(VALU_DEP_1) | instskip(NEXT) | instid1(VALU_DEP_1)
	v_mad_co_u64_u32 v[4:5], null, s7, v84, v[1:2]
	v_mad_co_u64_u32 v[5:6], null, s5, v98, v[3:4]
	v_mov_b32_e32 v1, v4
	s_mul_u64 s[4:5], s[4:5], 0x1b8
	s_delay_alu instid0(VALU_DEP_1) | instskip(NEXT) | instid1(VALU_DEP_3)
	v_lshlrev_b64_e32 v[0:1], 3, v[0:1]
	v_mov_b32_e32 v3, v5
	s_clause 0x3
	global_load_b64 v[4:5], v97, s[8:9]
	global_load_b64 v[6:7], v97, s[8:9] offset:440
	global_load_b64 v[8:9], v97, s[8:9] offset:880
	global_load_b64 v[10:11], v97, s[8:9] offset:1320
	v_lshlrev_b64_e32 v[2:3], 3, v[2:3]
	v_add_co_u32 v18, s2, s10, v0
	s_delay_alu instid0(VALU_DEP_1)
	v_add_co_ci_u32_e64 v19, s2, s11, v1, s2
	s_clause 0x3
	global_load_b64 v[0:1], v97, s[8:9] offset:1760
	global_load_b64 v[12:13], v97, s[8:9] offset:2200
	;; [unrolled: 1-line block ×4, first 2 shown]
	v_add_co_u32 v2, s2, v18, v2
	s_wait_alu 0xf1ff
	v_add_co_ci_u32_e64 v3, s2, v19, v3, s2
	s_clause 0x3
	global_load_b64 v[20:21], v97, s[8:9] offset:3520
	global_load_b64 v[22:23], v97, s[8:9] offset:3960
	;; [unrolled: 1-line block ×4, first 2 shown]
	s_wait_alu 0xfffe
	v_add_co_u32 v18, s2, v2, s4
	s_wait_alu 0xf1ff
	v_add_co_ci_u32_e64 v19, s2, s5, v3, s2
	s_clause 0x2
	global_load_b64 v[30:31], v97, s[8:9] offset:5280
	global_load_b64 v[32:33], v97, s[8:9] offset:5720
	;; [unrolled: 1-line block ×3, first 2 shown]
	v_add_co_u32 v28, s2, v18, s4
	s_wait_alu 0xf1ff
	v_add_co_ci_u32_e64 v29, s2, s5, v19, s2
	global_load_b64 v[2:3], v[2:3], off
	v_add_co_u32 v36, s2, v28, s4
	s_wait_alu 0xf1ff
	v_add_co_ci_u32_e64 v37, s2, s5, v29, s2
	s_delay_alu instid0(VALU_DEP_2) | instskip(SKIP_1) | instid1(VALU_DEP_2)
	v_add_co_u32 v38, s2, v36, s4
	s_wait_alu 0xf1ff
	v_add_co_ci_u32_e64 v39, s2, s5, v37, s2
	s_clause 0x2
	global_load_b64 v[18:19], v[18:19], off
	global_load_b64 v[28:29], v[28:29], off
	;; [unrolled: 1-line block ×3, first 2 shown]
	v_add_co_u32 v40, s2, v38, s4
	s_wait_alu 0xf1ff
	v_add_co_ci_u32_e64 v41, s2, s5, v39, s2
	global_load_b64 v[38:39], v[38:39], off
	v_add_co_u32 v42, s2, v40, s4
	s_wait_alu 0xf1ff
	v_add_co_ci_u32_e64 v43, s2, s5, v41, s2
	global_load_b64 v[40:41], v[40:41], off
	;; [unrolled: 4-line block ×11, first 2 shown]
	v_add_co_u32 v62, s2, v60, s4
	s_wait_alu 0xf1ff
	v_add_co_ci_u32_e64 v63, s2, s5, v61, s2
	global_load_b64 v[64:65], v97, s[8:9] offset:6600
	global_load_b64 v[60:61], v[60:61], off
	global_load_b64 v[66:67], v97, s[8:9] offset:7040
	global_load_b64 v[62:63], v[62:63], off
	v_add_nc_u32_e32 v74, 0x1000, v70
	s_wait_loadcnt 0x12
	v_mul_f32_e32 v68, v3, v5
	v_mul_f32_e32 v5, v2, v5
	s_delay_alu instid0(VALU_DEP_2) | instskip(NEXT) | instid1(VALU_DEP_2)
	v_dual_fmac_f32 v68, v2, v4 :: v_dual_add_nc_u32 v73, 0xc00, v70
	v_fma_f32 v69, v3, v4, -v5
	s_wait_loadcnt 0x11
	v_mul_f32_e32 v2, v19, v7
	s_wait_loadcnt 0x10
	v_dual_mul_f32 v3, v18, v7 :: v_dual_mul_f32 v4, v29, v9
	s_wait_loadcnt 0xf
	v_mul_f32_e32 v7, v36, v11
	v_dual_mul_f32 v5, v28, v9 :: v_dual_fmac_f32 v2, v18, v6
	s_delay_alu instid0(VALU_DEP_3) | instskip(SKIP_4) | instid1(VALU_DEP_3)
	v_fma_f32 v3, v19, v6, -v3
	s_wait_loadcnt 0xe
	v_dual_mul_f32 v6, v37, v11 :: v_dual_mul_f32 v9, v39, v1
	v_dual_fmac_f32 v4, v28, v8 :: v_dual_mul_f32 v1, v38, v1
	v_fma_f32 v5, v29, v8, -v5
	v_dual_fmac_f32 v6, v36, v10 :: v_dual_fmac_f32 v9, v38, v0
	v_fma_f32 v7, v37, v10, -v7
	s_delay_alu instid0(VALU_DEP_4)
	v_fma_f32 v10, v39, v0, -v1
	ds_store_b64 v71, v[68:69]
	s_wait_loadcnt 0xd
	v_mul_f32_e32 v8, v40, v13
	ds_store_2addr_b64 v70, v[2:3], v[4:5] offset0:55 offset1:110
	ds_store_2addr_b64 v70, v[6:7], v[9:10] offset0:165 offset1:220
	s_wait_loadcnt 0xb
	v_mul_f32_e32 v0, v45, v17
	s_wait_loadcnt 0xa
	v_mul_f32_e32 v2, v47, v21
	s_delay_alu instid0(VALU_DEP_1)
	v_dual_mul_f32 v1, v44, v17 :: v_dual_fmac_f32 v2, v46, v20
	s_wait_loadcnt 0x9
	v_mul_f32_e32 v5, v48, v23
	v_dual_mul_f32 v11, v41, v13 :: v_dual_fmac_f32 v0, v44, v16
	v_mul_f32_e32 v13, v43, v15
	v_mul_f32_e32 v15, v42, v15
	s_wait_loadcnt 0x8
	v_mul_f32_e32 v7, v50, v25
	v_dual_fmac_f32 v11, v40, v12 :: v_dual_mul_f32 v4, v49, v23
	v_fma_f32 v12, v41, v12, -v8
	v_dual_fmac_f32 v13, v42, v14 :: v_dual_mul_f32 v6, v51, v25
	v_fma_f32 v14, v43, v14, -v15
	s_wait_loadcnt 0x7
	v_dual_mul_f32 v8, v53, v27 :: v_dual_mul_f32 v3, v46, v21
	v_fmac_f32_e32 v4, v48, v22
	s_wait_loadcnt 0x6
	v_mul_f32_e32 v10, v55, v31
	ds_store_2addr_b64 v72, v[11:12], v[13:14] offset0:19 offset1:74
	v_dual_mul_f32 v9, v52, v27 :: v_dual_fmac_f32 v6, v50, v24
	s_wait_loadcnt 0x5
	v_mul_f32_e32 v12, v57, v33
	v_dual_fmac_f32 v8, v52, v26 :: v_dual_mul_f32 v11, v54, v31
	v_mul_f32_e32 v13, v56, v33
	v_fma_f32 v1, v45, v16, -v1
	s_wait_loadcnt 0x4
	v_mul_f32_e32 v14, v59, v35
	v_mul_f32_e32 v15, v58, v35
	s_wait_loadcnt 0x2
	v_dual_fmac_f32 v10, v54, v30 :: v_dual_mul_f32 v17, v60, v65
	s_wait_loadcnt 0x0
	v_dual_fmac_f32 v12, v56, v32 :: v_dual_mul_f32 v19, v62, v67
	v_mul_f32_e32 v16, v61, v65
	v_mul_f32_e32 v18, v63, v67
	v_fma_f32 v3, v47, v20, -v3
	v_fma_f32 v5, v49, v22, -v5
	;; [unrolled: 1-line block ×6, first 2 shown]
	v_fmac_f32_e32 v14, v58, v34
	v_fma_f32 v15, v59, v34, -v15
	v_fmac_f32_e32 v16, v60, v64
	v_fma_f32 v17, v61, v64, -v17
	;; [unrolled: 2-line block ×3, first 2 shown]
	v_add_nc_u32_e32 v20, 0x1800, v70
	ds_store_2addr_b64 v72, v[0:1], v[2:3] offset0:129 offset1:184
	ds_store_2addr_b64 v73, v[4:5], v[6:7] offset0:111 offset1:166
	ds_store_2addr_b64 v74, v[8:9], v[10:11] offset0:93 offset1:148
	ds_store_2addr_b64 v75, v[12:13], v[14:15] offset0:75 offset1:130
	ds_store_2addr_b64 v20, v[16:17], v[18:19] offset0:57 offset1:112
.LBB0_3:
	s_or_b32 exec_lo, exec_lo, s3
	s_clause 0x1
	s_load_b64 s[4:5], s[0:1], 0x20
	s_load_b64 s[2:3], s[0:1], 0x8
	v_mov_b32_e32 v8, 0
	v_mov_b32_e32 v9, 0
	global_wb scope:SCOPE_SE
	s_wait_dscnt 0x0
	s_wait_kmcnt 0x0
	s_barrier_signal -1
	s_barrier_wait -1
	global_inv scope:SCOPE_SE
                                        ; implicit-def: $vgpr26
                                        ; implicit-def: $vgpr20
                                        ; implicit-def: $vgpr16
                                        ; implicit-def: $vgpr12
                                        ; implicit-def: $vgpr4
                                        ; implicit-def: $vgpr34
                                        ; implicit-def: $vgpr38
                                        ; implicit-def: $vgpr30
	s_and_saveexec_b32 s0, vcc_lo
	s_cbranch_execz .LBB0_5
; %bb.4:
	v_lshl_add_u32 v0, v99, 3, v97
	s_delay_alu instid0(VALU_DEP_1)
	v_add_nc_u32_e32 v1, 0x400, v0
	v_add_nc_u32_e32 v2, 0x800, v0
	;; [unrolled: 1-line block ×4, first 2 shown]
	ds_load_2addr_b64 v[8:11], v0 offset1:55
	ds_load_2addr_b64 v[28:31], v0 offset0:110 offset1:165
	ds_load_2addr_b64 v[36:39], v1 offset0:92 offset1:147
	;; [unrolled: 1-line block ×7, first 2 shown]
	ds_load_b64 v[4:5], v0 offset:7040
.LBB0_5:
	s_wait_alu 0xfffe
	s_or_b32 exec_lo, exec_lo, s0
	s_wait_dscnt 0x0
	v_dual_sub_f32 v40, v11, v5 :: v_dual_sub_f32 v41, v10, v4
	v_dual_add_f32 v46, v4, v10 :: v_dual_add_f32 v47, v5, v11
	global_wb scope:SCOPE_SE
	v_dual_mul_f32 v64, 0xbf2c7751, v40 :: v_dual_mul_f32 v69, 0xbf2c7751, v41
	v_dual_mul_f32 v60, 0xbeb8f4ab, v41 :: v_dual_sub_f32 v43, v28, v14
	v_add_f32_e32 v48, v14, v28
	v_mul_f32_e32 v188, 0xbf4c4adb, v40
	s_delay_alu instid0(VALU_DEP_4) | instskip(SKIP_3) | instid1(VALU_DEP_3)
	v_fma_f32 v3, 0x3f3d2fb0, v47, -v69
	v_mul_f32_e32 v72, 0xbf65296c, v40
	v_fma_f32 v1, 0x3f6eb680, v47, -v60
	v_dual_mul_f32 v56, 0xbeb8f4ab, v40 :: v_dual_add_f32 v49, v15, v29
	v_dual_add_f32 v3, v3, v9 :: v_dual_fmamk_f32 v6, v46, 0x3ee437d1, v72
	v_mul_f32_e32 v79, 0xbf65296c, v41
	s_delay_alu instid0(VALU_DEP_4)
	v_add_f32_e32 v1, v1, v9
	v_mul_f32_e32 v77, 0xbf7ee86f, v43
	v_sub_f32_e32 v42, v29, v15
	v_add_f32_e32 v6, v6, v8
	v_fma_f32 v7, 0x3ee437d1, v47, -v79
	v_fmamk_f32 v0, v46, 0x3f6eb680, v56
	v_dual_mul_f32 v105, 0xbf7ee86f, v41 :: v_dual_mul_f32 v94, 0xbf7ee86f, v40
	v_mul_f32_e32 v71, 0xbf7ee86f, v42
	s_delay_alu instid0(VALU_DEP_3) | instskip(NEXT) | instid1(VALU_DEP_3)
	v_dual_add_f32 v7, v7, v9 :: v_dual_add_f32 v0, v0, v8
	v_fma_f32 v45, 0x3dbcf732, v47, -v105
	v_fmamk_f32 v2, v46, 0x3f3d2fb0, v64
	v_fmamk_f32 v44, v46, 0x3dbcf732, v94
	v_mul_f32_e32 v202, 0xbf4c4adb, v41
	s_barrier_signal -1
	v_add_f32_e32 v53, v45, v9
	v_fmamk_f32 v45, v48, 0x3dbcf732, v71
	v_mul_f32_e32 v80, 0xbf4c4adb, v42
	v_dual_add_f32 v2, v2, v8 :: v_dual_mul_f32 v65, 0xbf2c7751, v43
	v_dual_mul_f32 v190, 0x3f763a35, v42 :: v_dual_mul_f32 v203, 0x3f763a35, v43
	s_delay_alu instid0(VALU_DEP_2) | instskip(SKIP_2) | instid1(VALU_DEP_2)
	v_dual_fmamk_f32 v51, v48, 0xbf1a4643, v80 :: v_dual_add_f32 v2, v45, v2
	s_barrier_wait -1
	v_mul_f32_e32 v91, 0xbf4c4adb, v43
	v_dual_sub_f32 v45, v30, v12 :: v_dual_add_f32 v6, v51, v6
	v_dual_add_f32 v51, v13, v31 :: v_dual_add_f32 v52, v44, v8
	v_fma_f32 v44, 0x3f3d2fb0, v49, -v65
	v_mul_f32_e32 v58, 0xbf2c7751, v42
	v_fma_f32 v54, 0xbf1a4643, v49, -v91
	v_mul_f32_e32 v88, 0xbf4c4adb, v45
	v_fma_f32 v140, 0xbe8c1d8e, v49, -v203
	v_dual_add_f32 v1, v44, v1 :: v_dual_mul_f32 v114, 0xbe3c28d5, v43
	s_delay_alu instid0(VALU_DEP_4) | instskip(SKIP_2) | instid1(VALU_DEP_4)
	v_dual_fmamk_f32 v50, v48, 0x3f3d2fb0, v58 :: v_dual_add_f32 v7, v54, v7
	v_mul_f32_e32 v67, 0xbf65296c, v45
	v_sub_f32_e32 v139, v37, v19
	v_fma_f32 v55, 0xbf7ba420, v49, -v114
	v_mul_f32_e32 v108, 0xbe3c28d5, v42
	v_add_f32_e32 v0, v50, v0
	v_fma_f32 v50, 0x3dbcf732, v49, -v77
	s_delay_alu instid0(VALU_DEP_4) | instskip(NEXT) | instid1(VALU_DEP_4)
	v_dual_mul_f32 v170, 0xbf65296c, v139 :: v_dual_add_f32 v53, v55, v53
	v_fmamk_f32 v54, v48, 0xbf7ba420, v108
	s_delay_alu instid0(VALU_DEP_3) | instskip(SKIP_2) | instid1(VALU_DEP_4)
	v_dual_mul_f32 v182, 0xbf763a35, v41 :: v_dual_add_f32 v3, v50, v3
	v_add_f32_e32 v50, v12, v30
	v_sub_f32_e32 v44, v31, v13
	v_add_f32_e32 v52, v54, v52
	v_fma_f32 v54, 0x3ee437d1, v51, -v67
	v_fmamk_f32 v137, v48, 0xbe8c1d8e, v190
	v_sub_f32_e32 v143, v36, v18
	v_add_f32_e32 v59, v19, v37
	v_mul_f32_e32 v181, 0x3f2c7751, v45
	v_add_f32_e32 v1, v54, v1
	v_fma_f32 v54, 0xbf1a4643, v51, -v88
	v_mul_f32_e32 v62, 0xbf65296c, v44
	v_mul_f32_e32 v96, 0xbe3c28d5, v143
	v_dual_mul_f32 v74, 0xbf7ee86f, v143 :: v_dual_sub_f32 v151, v39, v17
	s_delay_alu instid0(VALU_DEP_4) | instskip(NEXT) | instid1(VALU_DEP_4)
	v_add_f32_e32 v3, v54, v3
	v_fmamk_f32 v57, v50, 0x3ee437d1, v62
	v_mul_f32_e32 v78, 0xbf4c4adb, v44
	v_mul_f32_e32 v90, 0x3e3c28d5, v44
	;; [unrolled: 1-line block ×3, first 2 shown]
	v_fma_f32 v61, 0xbf7ba420, v59, -v96
	s_delay_alu instid0(VALU_DEP_4) | instskip(SKIP_3) | instid1(VALU_DEP_4)
	v_dual_add_f32 v0, v57, v0 :: v_dual_fmamk_f32 v55, v50, 0xbf1a4643, v78
	v_mul_f32_e32 v104, 0x3e3c28d5, v45
	v_fmamk_f32 v57, v50, 0xbf7ba420, v90
	v_fmamk_f32 v54, v50, 0xbe8c1d8e, v113
	v_dual_mul_f32 v121, 0x3f763a35, v45 :: v_dual_add_f32 v2, v55, v2
	v_add_f32_e32 v3, v61, v3
	v_fma_f32 v55, 0xbf7ba420, v51, -v104
	v_dual_add_f32 v6, v57, v6 :: v_dual_add_f32 v57, v18, v36
	v_mul_f32_e32 v103, 0x3f763a35, v139
	v_dual_mul_f32 v75, 0xbf763a35, v151 :: v_dual_sub_f32 v152, v38, v16
	s_delay_alu instid0(VALU_DEP_4) | instskip(SKIP_2) | instid1(VALU_DEP_4)
	v_dual_add_f32 v7, v55, v7 :: v_dual_add_f32 v52, v54, v52
	v_fma_f32 v54, 0xbe8c1d8e, v51, -v121
	v_mul_f32_e32 v68, 0xbf7ee86f, v139
	v_dual_mul_f32 v92, 0x3f06c442, v151 :: v_dual_mul_f32 v109, 0x3f06c442, v152
	v_add_f32_e32 v61, v16, v38
	s_delay_alu instid0(VALU_DEP_4) | instskip(NEXT) | instid1(VALU_DEP_4)
	v_add_f32_e32 v53, v54, v53
	v_fmamk_f32 v55, v57, 0x3dbcf732, v68
	v_fma_f32 v54, 0x3dbcf732, v59, -v74
	v_mul_f32_e32 v89, 0xbe3c28d5, v139
	v_mul_f32_e32 v112, 0x3f763a35, v143
	v_dual_sub_f32 v167, v33, v23 :: v_dual_mul_f32 v130, 0xbf65296c, v152
	s_delay_alu instid0(VALU_DEP_4) | instskip(SKIP_4) | instid1(VALU_DEP_4)
	v_dual_add_f32 v0, v55, v0 :: v_dual_add_f32 v1, v54, v1
	v_fmamk_f32 v54, v57, 0xbe8c1d8e, v103
	v_mul_f32_e32 v120, 0x3eb8f4ab, v139
	v_add_f32_e32 v63, v17, v39
	v_fmamk_f32 v55, v57, 0xbf7ba420, v89
	v_dual_mul_f32 v111, 0x3f2c7751, v151 :: v_dual_add_f32 v6, v54, v6
	v_dual_mul_f32 v117, 0x3f2c7751, v152 :: v_dual_sub_f32 v166, v32, v22
	s_delay_alu instid0(VALU_DEP_4)
	v_fma_f32 v66, 0xbf59a7d5, v63, -v109
	v_fmamk_f32 v54, v57, 0x3f6eb680, v120
	v_add_f32_e32 v2, v55, v2
	v_fma_f32 v55, 0xbe8c1d8e, v59, -v112
	v_mul_f32_e32 v127, 0xbf65296c, v151
	v_add_f32_e32 v3, v66, v3
	v_add_f32_e32 v66, v22, v32
	;; [unrolled: 1-line block ×3, first 2 shown]
	v_dual_fmamk_f32 v54, v61, 0xbe8c1d8e, v75 :: v_dual_add_f32 v7, v55, v7
	v_fmamk_f32 v70, v61, 0x3f3d2fb0, v111
	v_mul_f32_e32 v87, 0xbf4c4adb, v167
	v_dual_mul_f32 v119, 0xbeb8f4ab, v167 :: v_dual_mul_f32 v124, 0xbeb8f4ab, v166
	s_delay_alu instid0(VALU_DEP_4)
	v_add_f32_e32 v0, v54, v0
	v_fma_f32 v73, 0x3ee437d1, v63, -v130
	v_mul_f32_e32 v122, 0x3eb8f4ab, v143
	v_add_f32_e32 v6, v70, v6
	v_add_f32_e32 v70, v23, v33
	v_fmamk_f32 v76, v66, 0xbf1a4643, v87
	v_sub_f32_e32 v168, v35, v21
	v_fma_f32 v55, 0x3f6eb680, v59, -v122
	v_dual_mul_f32 v128, 0xbf06c442, v167 :: v_dual_mul_f32 v133, 0xbf06c442, v166
	v_sub_f32_e32 v169, v34, v20
	v_sub_f32_e32 v179, v25, v27
	s_delay_alu instid0(VALU_DEP_4) | instskip(SKIP_4) | instid1(VALU_DEP_4)
	v_add_f32_e32 v53, v55, v53
	v_fmamk_f32 v55, v61, 0xbf59a7d5, v92
	v_mul_f32_e32 v83, 0xbf763a35, v152
	v_mul_f32_e32 v95, 0xbf06c442, v168
	v_dual_mul_f32 v107, 0xbe3c28d5, v179 :: v_dual_add_f32 v82, v27, v25
	v_add_f32_e32 v2, v55, v2
	s_delay_alu instid0(VALU_DEP_4)
	v_fma_f32 v54, 0xbe8c1d8e, v63, -v83
	v_add_f32_e32 v53, v73, v53
	v_fmamk_f32 v73, v66, 0x3f6eb680, v119
	v_mul_f32_e32 v123, 0x3f65296c, v169
	v_mul_f32_e32 v131, 0xbf7ee86f, v169
	v_add_f32_e32 v1, v54, v1
	v_fma_f32 v54, 0x3f3d2fb0, v63, -v117
	v_add_f32_e32 v6, v73, v6
	v_add_f32_e32 v73, v20, v34
	v_dual_fmamk_f32 v55, v61, 0x3ee437d1, v127 :: v_dual_add_f32 v0, v76, v0
	v_mul_f32_e32 v93, 0xbf4c4adb, v166
	v_add_f32_e32 v7, v54, v7
	v_fma_f32 v76, 0x3f6eb680, v70, -v124
	s_delay_alu instid0(VALU_DEP_4)
	v_add_f32_e32 v52, v55, v52
	v_mul_f32_e32 v116, 0x3f763a35, v166
	v_fma_f32 v54, 0xbf1a4643, v70, -v93
	v_mul_f32_e32 v102, 0x3f763a35, v167
	v_add_f32_e32 v7, v76, v7
	v_dual_sub_f32 v185, v24, v26 :: v_dual_mul_f32 v118, 0x3eb8f4ab, v179
	s_delay_alu instid0(VALU_DEP_4) | instskip(NEXT) | instid1(VALU_DEP_4)
	v_add_f32_e32 v1, v54, v1
	v_fmamk_f32 v54, v66, 0xbe8c1d8e, v102
	v_fma_f32 v55, 0xbe8c1d8e, v70, -v116
	s_delay_alu instid0(VALU_DEP_4) | instskip(SKIP_1) | instid1(VALU_DEP_4)
	v_dual_mul_f32 v129, 0xbf06c442, v179 :: v_dual_mul_f32 v132, 0xbf06c442, v185
	v_dual_mul_f32 v134, 0x3f4c4adb, v168 :: v_dual_mul_f32 v145, 0x3f4c4adb, v169
	v_add_f32_e32 v2, v54, v2
	s_delay_alu instid0(VALU_DEP_4) | instskip(SKIP_3) | instid1(VALU_DEP_4)
	v_dual_fmamk_f32 v54, v66, 0xbf59a7d5, v128 :: v_dual_add_f32 v3, v55, v3
	v_fmamk_f32 v55, v73, 0xbf59a7d5, v95
	v_mul_f32_e32 v125, 0xbf7ee86f, v168
	v_mul_f32_e32 v172, 0x3f2c7751, v44
	v_add_f32_e32 v52, v54, v52
	v_fma_f32 v54, 0xbf59a7d5, v70, -v133
	v_add_f32_e32 v76, v21, v35
	v_add_f32_e32 v0, v55, v0
	v_mul_f32_e32 v184, 0x3f06c442, v43
	s_delay_alu instid0(VALU_DEP_4) | instskip(NEXT) | instid1(VALU_DEP_4)
	v_dual_mul_f32 v138, 0x3f2c7751, v179 :: v_dual_add_f32 v53, v54, v53
	v_fma_f32 v55, 0x3ee437d1, v76, -v123
	v_mul_f32_e32 v106, 0xbf06c442, v169
	v_dual_mul_f32 v176, 0x3f7ee86f, v167 :: v_dual_mul_f32 v183, 0x3f7ee86f, v166
	v_mul_f32_e32 v180, 0xbf65296c, v143
	s_delay_alu instid0(VALU_DEP_4) | instskip(NEXT) | instid1(VALU_DEP_4)
	v_add_f32_e32 v3, v55, v3
	v_fma_f32 v54, 0xbf59a7d5, v76, -v106
	v_mul_f32_e32 v110, 0x3f65296c, v168
	v_mul_f32_e32 v178, 0xbe3c28d5, v152
	v_dual_mul_f32 v174, 0xbeb8f4ab, v168 :: v_dual_mul_f32 v197, 0xbeb8f4ab, v45
	s_delay_alu instid0(VALU_DEP_4) | instskip(NEXT) | instid1(VALU_DEP_4)
	v_dual_add_f32 v1, v54, v1 :: v_dual_fmamk_f32 v54, v73, 0x3dbcf732, v125
	v_fmamk_f32 v81, v73, 0x3ee437d1, v110
	v_mul_f32_e32 v198, 0xbf06c442, v143
	v_mul_f32_e32 v200, 0xbf2c7751, v166
	s_delay_alu instid0(VALU_DEP_4) | instskip(NEXT) | instid1(VALU_DEP_4)
	v_dual_mul_f32 v201, 0xbe3c28d5, v169 :: v_dual_add_f32 v6, v54, v6
	v_dual_add_f32 v2, v81, v2 :: v_dual_add_f32 v81, v26, v24
	v_fma_f32 v54, 0x3dbcf732, v76, -v131
	v_mul_f32_e32 v126, 0x3eb8f4ab, v185
	v_mul_f32_e32 v177, 0xbe3c28d5, v151
	;; [unrolled: 1-line block ×3, first 2 shown]
	v_fmamk_f32 v55, v81, 0xbf7ba420, v107
	v_dual_add_f32 v7, v54, v7 :: v_dual_fmamk_f32 v54, v81, 0x3f6eb680, v118
	v_mul_f32_e32 v115, 0xbe3c28d5, v185
	v_mul_f32_e32 v175, 0xbf4c4adb, v179
	s_delay_alu instid0(VALU_DEP_4)
	v_add_f32_e32 v85, v55, v0
	v_fma_f32 v55, 0x3f6eb680, v82, -v126
	v_add_f32_e32 v2, v54, v2
	v_fma_f32 v0, 0xbf7ba420, v82, -v115
	v_mul_f32_e32 v193, 0xbf06c442, v139
	v_mul_f32_e32 v195, 0x3f65296c, v185
	v_add_f32_e32 v3, v55, v3
	v_mul_f32_e32 v194, 0x3f7ee86f, v151
	v_add_f32_e32 v86, v0, v1
	v_fmamk_f32 v0, v81, 0xbf59a7d5, v129
	v_mul_f32_e32 v171, 0xbf763a35, v40
	v_fma_f32 v1, 0xbf59a7d5, v82, -v132
	v_fma_f32 v142, 0x3ee437d1, v82, -v195
	v_mul_f32_e32 v196, 0xbf2c7751, v167
	v_add_f32_e32 v0, v0, v6
	s_delay_alu instid0(VALU_DEP_4) | instskip(SKIP_3) | instid1(VALU_DEP_4)
	v_dual_fmamk_f32 v54, v46, 0xbe8c1d8e, v171 :: v_dual_add_f32 v1, v1, v7
	v_mul_f32_e32 v173, 0x3f06c442, v42
	v_fma_f32 v7, 0xbf1a4643, v76, -v145
	v_fmamk_f32 v6, v73, 0xbf1a4643, v134
	v_add_f32_e32 v54, v54, v8
	v_mul_f32_e32 v199, 0x3f7ee86f, v152
	global_inv scope:SCOPE_SE
	v_add_f32_e32 v7, v7, v53
	v_dual_fmamk_f32 v55, v48, 0xbf59a7d5, v173 :: v_dual_add_f32 v6, v6, v52
	v_fmamk_f32 v53, v57, 0x3ee437d1, v170
	v_mul_f32_e32 v187, 0xbf4c4adb, v185
	s_delay_alu instid0(VALU_DEP_3) | instskip(SKIP_2) | instid1(VALU_DEP_2)
	v_dual_mul_f32 v189, 0xbe3c28d5, v168 :: v_dual_add_f32 v52, v55, v54
	v_fmamk_f32 v54, v50, 0x3f3d2fb0, v172
	v_fma_f32 v55, 0xbf59a7d5, v49, -v184
	v_dual_mul_f32 v191, 0x3f65296c, v179 :: v_dual_add_f32 v52, v54, v52
	v_fma_f32 v54, 0xbe8c1d8e, v47, -v182
	s_delay_alu instid0(VALU_DEP_2) | instskip(NEXT) | instid1(VALU_DEP_3)
	v_fmamk_f32 v141, v81, 0x3ee437d1, v191
	v_add_f32_e32 v52, v53, v52
	s_delay_alu instid0(VALU_DEP_3) | instskip(SKIP_1) | instid1(VALU_DEP_2)
	v_dual_fmamk_f32 v53, v61, 0xbf7ba420, v177 :: v_dual_add_f32 v54, v54, v9
	v_fmamk_f32 v101, v81, 0x3f3d2fb0, v138
	v_dual_add_f32 v52, v53, v52 :: v_dual_fmamk_f32 v53, v66, 0x3dbcf732, v176
	s_delay_alu instid0(VALU_DEP_3) | instskip(SKIP_1) | instid1(VALU_DEP_1)
	v_add_f32_e32 v54, v55, v54
	v_fma_f32 v55, 0x3f3d2fb0, v51, -v181
	v_dual_add_f32 v52, v53, v52 :: v_dual_add_f32 v53, v55, v54
	v_fma_f32 v55, 0x3ee437d1, v59, -v180
	v_add_f32_e32 v54, v101, v6
	s_delay_alu instid0(VALU_DEP_2) | instskip(SKIP_2) | instid1(VALU_DEP_2)
	v_dual_fmamk_f32 v101, v81, 0xbf1a4643, v175 :: v_dual_add_f32 v6, v55, v53
	v_fma_f32 v53, 0xbf7ba420, v63, -v178
	v_fma_f32 v55, 0xbf1a4643, v47, -v202
	v_dual_add_f32 v6, v53, v6 :: v_dual_fmamk_f32 v53, v46, 0xbf1a4643, v188
	s_delay_alu instid0(VALU_DEP_2) | instskip(NEXT) | instid1(VALU_DEP_2)
	v_add_f32_e32 v55, v55, v9
	v_add_f32_e32 v53, v53, v8
	s_delay_alu instid0(VALU_DEP_2) | instskip(NEXT) | instid1(VALU_DEP_2)
	v_add_f32_e32 v55, v140, v55
	v_add_f32_e32 v53, v137, v53
	v_fma_f32 v137, 0x3f6eb680, v51, -v197
	s_delay_alu instid0(VALU_DEP_1) | instskip(SKIP_1) | instid1(VALU_DEP_2)
	v_dual_mul_f32 v150, 0x3f2c7751, v185 :: v_dual_add_f32 v55, v137, v55
	v_fma_f32 v137, 0xbf59a7d5, v59, -v198
	v_fma_f32 v135, 0x3f3d2fb0, v82, -v150
	v_fmamk_f32 v136, v73, 0x3f6eb680, v174
	s_delay_alu instid0(VALU_DEP_3) | instskip(SKIP_1) | instid1(VALU_DEP_1)
	v_add_f32_e32 v55, v137, v55
	v_fma_f32 v137, 0x3dbcf732, v63, -v199
	v_add_f32_e32 v55, v137, v55
	v_fma_f32 v137, 0x3f3d2fb0, v70, -v200
	s_delay_alu instid0(VALU_DEP_1) | instskip(SKIP_1) | instid1(VALU_DEP_2)
	v_dual_mul_f32 v186, 0xbeb8f4ab, v169 :: v_dual_add_f32 v55, v137, v55
	v_fma_f32 v137, 0xbf7ba420, v76, -v201
	v_fma_f32 v140, 0x3f6eb680, v76, -v186
	s_delay_alu instid0(VALU_DEP_2) | instskip(SKIP_2) | instid1(VALU_DEP_2)
	v_add_f32_e32 v137, v137, v55
	v_dual_add_f32 v55, v135, v7 :: v_dual_add_f32 v52, v136, v52
	v_fma_f32 v136, 0x3dbcf732, v70, -v183
	v_dual_add_f32 v7, v142, v137 :: v_dual_add_f32 v52, v101, v52
	s_delay_alu instid0(VALU_DEP_2) | instskip(SKIP_1) | instid1(VALU_DEP_2)
	v_add_f32_e32 v6, v136, v6
	v_mul_lo_u16 v101, v98, 17
	v_add_f32_e32 v6, v140, v6
	v_fma_f32 v140, 0xbf1a4643, v82, -v187
	v_fmamk_f32 v136, v50, 0x3f6eb680, v192
	s_delay_alu instid0(VALU_DEP_1) | instskip(NEXT) | instid1(VALU_DEP_1)
	v_dual_add_f32 v53, v136, v53 :: v_dual_fmamk_f32 v136, v57, 0xbf59a7d5, v193
	v_dual_add_f32 v53, v136, v53 :: v_dual_fmamk_f32 v136, v61, 0x3dbcf732, v194
	s_delay_alu instid0(VALU_DEP_1) | instskip(NEXT) | instid1(VALU_DEP_1)
	v_dual_add_f32 v53, v136, v53 :: v_dual_fmamk_f32 v136, v66, 0x3f3d2fb0, v196
	v_dual_add_f32 v53, v136, v53 :: v_dual_fmamk_f32 v136, v73, 0xbf7ba420, v189
	s_delay_alu instid0(VALU_DEP_1) | instskip(NEXT) | instid1(VALU_DEP_1)
	v_add_f32_e32 v136, v136, v53
	v_dual_add_f32 v53, v140, v6 :: v_dual_add_f32 v6, v141, v136
	s_and_saveexec_b32 s0, vcc_lo
	s_cbranch_execz .LBB0_7
; %bb.6:
	v_dual_mul_f32 v149, 0xbe3c28d5, v41 :: v_dual_mul_f32 v146, 0xbe3c28d5, v40
	v_dual_mul_f32 v148, 0x3eb8f4ab, v43 :: v_dual_mul_f32 v135, 0x3eb8f4ab, v42
	v_dual_mul_f32 v153, 0xbf06c442, v45 :: v_dual_mul_f32 v136, 0xbf06c442, v44
	s_delay_alu instid0(VALU_DEP_3) | instskip(NEXT) | instid1(VALU_DEP_4)
	v_fma_f32 v140, 0xbf7ba420, v46, -v146
	v_fmamk_f32 v137, v47, 0xbf7ba420, v149
	s_delay_alu instid0(VALU_DEP_4) | instskip(SKIP_1) | instid1(VALU_DEP_4)
	v_fma_f32 v144, 0x3f6eb680, v48, -v135
	v_mul_f32_e32 v158, 0x3f65296c, v166
	v_dual_mul_f32 v163, 0xbf7ee86f, v45 :: v_dual_add_f32 v140, v140, v8
	v_fmamk_f32 v141, v49, 0x3f6eb680, v148
	v_dual_add_f32 v142, v137, v9 :: v_dual_mul_f32 v137, 0x3f2c7751, v139
	v_mul_f32_e32 v164, 0x3f4c4adb, v143
	s_delay_alu instid0(VALU_DEP_4) | instskip(NEXT) | instid1(VALU_DEP_3)
	v_add_f32_e32 v140, v144, v140
	v_dual_mul_f32 v154, 0x3f2c7751, v143 :: v_dual_add_f32 v141, v141, v142
	v_fma_f32 v142, 0xbf59a7d5, v50, -v136
	v_fmamk_f32 v147, v51, 0xbf59a7d5, v153
	v_mul_f32_e32 v165, 0xbeb8f4ab, v152
	s_delay_alu instid0(VALU_DEP_4) | instskip(NEXT) | instid1(VALU_DEP_4)
	v_fmamk_f32 v144, v59, 0x3f3d2fb0, v154
	v_dual_mul_f32 v159, 0xbf763a35, v169 :: v_dual_add_f32 v142, v142, v140
	s_delay_alu instid0(VALU_DEP_4) | instskip(SKIP_3) | instid1(VALU_DEP_4)
	v_dual_mul_f32 v156, 0xbf4c4adb, v152 :: v_dual_add_f32 v141, v147, v141
	v_fma_f32 v147, 0x3f3d2fb0, v57, -v137
	v_mul_f32_e32 v152, 0xbe3c28d5, v167
	v_fmac_f32_e32 v137, 0x3f3d2fb0, v57
	v_dual_fmamk_f32 v155, v63, 0xbf1a4643, v156 :: v_dual_add_f32 v144, v144, v141
	s_delay_alu instid0(VALU_DEP_4) | instskip(SKIP_2) | instid1(VALU_DEP_4)
	v_dual_mul_f32 v141, 0x3f65296c, v167 :: v_dual_add_f32 v142, v147, v142
	v_fmamk_f32 v157, v70, 0x3ee437d1, v158
	v_mul_f32_e32 v140, 0xbf4c4adb, v151
	v_add_f32_e32 v144, v155, v144
	s_delay_alu instid0(VALU_DEP_4)
	v_fma_f32 v155, 0x3ee437d1, v66, -v141
	v_fmamk_f32 v160, v76, 0xbe8c1d8e, v159
	v_mul_f32_e32 v151, 0xbeb8f4ab, v151
	v_fma_f32 v147, 0xbf1a4643, v61, -v140
	v_dual_add_f32 v157, v157, v144 :: v_dual_mul_f32 v144, 0x3f7ee86f, v185
	v_fmac_f32_e32 v141, 0x3ee437d1, v66
	v_mul_f32_e32 v143, 0x3f4c4adb, v139
	s_delay_alu instid0(VALU_DEP_4) | instskip(NEXT) | instid1(VALU_DEP_4)
	v_dual_add_f32 v147, v147, v142 :: v_dual_mul_f32 v142, 0xbf763a35, v168
	v_dual_add_f32 v160, v160, v157 :: v_dual_mul_f32 v157, 0xbf06c442, v40
	v_mul_f32_e32 v167, 0x3f2c7751, v169
	s_delay_alu instid0(VALU_DEP_3) | instskip(NEXT) | instid1(VALU_DEP_4)
	v_add_f32_e32 v147, v155, v147
	v_fma_f32 v161, 0xbe8c1d8e, v73, -v142
	v_mul_f32_e32 v155, 0xbf06c442, v41
	v_fmac_f32_e32 v142, 0xbe8c1d8e, v73
	v_add_f32_e32 v10, v10, v8
	v_fmac_f32_e32 v146, 0xbf7ba420, v46
	v_add_f32_e32 v204, v161, v147
	v_mul_f32_e32 v147, 0x3f7ee86f, v179
	v_fmamk_f32 v162, v82, 0x3dbcf732, v144
	v_dual_mul_f32 v161, 0xbf7ee86f, v44 :: v_dual_add_f32 v10, v28, v10
	v_fmac_f32_e32 v136, 0xbf59a7d5, v50
	s_delay_alu instid0(VALU_DEP_3)
	v_dual_fmac_f32 v140, 0xbf1a4643, v61 :: v_dual_add_f32 v41, v162, v160
	v_mul_f32_e32 v162, 0x3f65296c, v43
	v_fma_f32 v43, 0xbf59a7d5, v46, -v157
	v_fma_f32 v44, 0x3dbcf732, v50, -v161
	v_mul_f32_e32 v160, 0x3f65296c, v42
	v_add_f32_e32 v10, v30, v10
	v_fmac_f32_e32 v157, 0xbf59a7d5, v46
	v_add_f32_e32 v43, v43, v8
	s_delay_alu instid0(VALU_DEP_4) | instskip(SKIP_1) | instid1(VALU_DEP_2)
	v_fma_f32 v45, 0x3ee437d1, v48, -v160
	v_fmamk_f32 v40, v47, 0xbf59a7d5, v155
	v_dual_add_f32 v10, v36, v10 :: v_dual_add_f32 v43, v45, v43
	s_delay_alu instid0(VALU_DEP_2) | instskip(SKIP_2) | instid1(VALU_DEP_4)
	v_add_f32_e32 v40, v40, v9
	v_fma_f32 v45, 0x3dbcf732, v81, -v147
	v_fmac_f32_e32 v147, 0x3dbcf732, v81
	v_add_f32_e32 v43, v44, v43
	v_fma_f32 v44, 0xbf1a4643, v57, -v143
	v_fmamk_f32 v42, v49, 0x3ee437d1, v162
	v_fmac_f32_e32 v160, 0x3ee437d1, v48
	v_fmac_f32_e32 v143, 0xbf1a4643, v57
	s_delay_alu instid0(VALU_DEP_4) | instskip(SKIP_2) | instid1(VALU_DEP_2)
	v_add_f32_e32 v43, v44, v43
	v_fma_f32 v44, 0x3f6eb680, v61, -v151
	v_add_f32_e32 v40, v42, v40
	v_dual_fmamk_f32 v42, v51, 0x3dbcf732, v163 :: v_dual_add_f32 v43, v44, v43
	v_fma_f32 v44, 0xbf7ba420, v66, -v152
	s_delay_alu instid0(VALU_DEP_2) | instskip(NEXT) | instid1(VALU_DEP_2)
	v_add_f32_e32 v40, v42, v40
	v_dual_fmamk_f32 v42, v59, 0xbf1a4643, v164 :: v_dual_add_f32 v43, v44, v43
	v_mul_f32_e32 v44, 0xbf1a4643, v47
	s_delay_alu instid0(VALU_DEP_2) | instskip(NEXT) | instid1(VALU_DEP_2)
	v_dual_add_f32 v40, v42, v40 :: v_dual_fmac_f32 v151, 0x3f6eb680, v61
	v_add_f32_e32 v44, v202, v44
	s_delay_alu instid0(VALU_DEP_1) | instskip(NEXT) | instid1(VALU_DEP_1)
	v_dual_mul_f32 v139, 0x3f2c7751, v168 :: v_dual_add_f32 v44, v44, v9
	v_fma_f32 v169, 0x3f3d2fb0, v73, -v139
	v_mul_f32_e32 v166, 0xbe3c28d5, v166
	s_delay_alu instid0(VALU_DEP_2) | instskip(SKIP_3) | instid1(VALU_DEP_3)
	v_dual_fmac_f32 v139, 0x3f3d2fb0, v73 :: v_dual_add_f32 v202, v169, v43
	v_fmamk_f32 v42, v63, 0x3f6eb680, v165
	v_mul_f32_e32 v169, 0xbf763a35, v179
	v_mul_f32_e32 v179, 0xbe8c1d8e, v48
	v_add_f32_e32 v40, v42, v40
	s_delay_alu instid0(VALU_DEP_2) | instskip(SKIP_2) | instid1(VALU_DEP_3)
	v_dual_fmamk_f32 v42, v70, 0xbf7ba420, v166 :: v_dual_sub_f32 v179, v179, v190
	v_mul_f32_e32 v190, 0x3dbcf732, v61
	v_fmac_f32_e32 v152, 0xbf7ba420, v66
	v_add_f32_e32 v42, v42, v40
	v_dual_add_f32 v40, v45, v204 :: v_dual_mul_f32 v45, 0xbe8c1d8e, v49
	s_delay_alu instid0(VALU_DEP_1) | instskip(SKIP_1) | instid1(VALU_DEP_2)
	v_add_f32_e32 v43, v203, v45
	v_mul_f32_e32 v45, 0xbf1a4643, v46
	v_add_f32_e32 v43, v43, v44
	s_delay_alu instid0(VALU_DEP_2) | instskip(NEXT) | instid1(VALU_DEP_1)
	v_sub_f32_e32 v45, v45, v188
	v_dual_add_f32 v45, v45, v8 :: v_dual_fmamk_f32 v168, v76, 0x3f3d2fb0, v167
	s_delay_alu instid0(VALU_DEP_1) | instskip(SKIP_2) | instid1(VALU_DEP_1)
	v_dual_add_f32 v45, v179, v45 :: v_dual_add_f32 v42, v168, v42
	v_mul_f32_e32 v168, 0xbf763a35, v185
	v_mul_f32_e32 v185, 0x3f6eb680, v51
	v_dual_fmac_f32 v161, 0x3dbcf732, v50 :: v_dual_add_f32 v44, v197, v185
	v_mul_f32_e32 v185, 0xbf59a7d5, v59
	s_delay_alu instid0(VALU_DEP_1) | instskip(SKIP_1) | instid1(VALU_DEP_2)
	v_dual_add_f32 v43, v44, v43 :: v_dual_add_f32 v44, v198, v185
	v_mul_f32_e32 v185, 0x3dbcf732, v63
	v_dual_mul_f32 v188, 0x3f6eb680, v50 :: v_dual_add_f32 v43, v44, v43
	s_delay_alu instid0(VALU_DEP_2) | instskip(NEXT) | instid1(VALU_DEP_2)
	v_dual_add_f32 v44, v199, v185 :: v_dual_mul_f32 v185, 0x3f3d2fb0, v70
	v_dual_sub_f32 v179, v188, v192 :: v_dual_mul_f32 v188, 0xbf59a7d5, v57
	v_fma_f32 v192, 0xbe8c1d8e, v81, -v169
	s_delay_alu instid0(VALU_DEP_3) | instskip(NEXT) | instid1(VALU_DEP_4)
	v_add_f32_e32 v43, v44, v43
	v_add_f32_e32 v44, v200, v185
	s_delay_alu instid0(VALU_DEP_4) | instskip(SKIP_4) | instid1(VALU_DEP_4)
	v_add_f32_e32 v45, v179, v45
	v_dual_sub_f32 v179, v188, v193 :: v_dual_fmamk_f32 v188, v82, 0xbe8c1d8e, v168
	v_sub_f32_e32 v185, v190, v194
	v_mul_f32_e32 v190, 0x3f3d2fb0, v66
	v_fmac_f32_e32 v169, 0xbe8c1d8e, v81
	v_add_f32_e32 v45, v179, v45
	v_dual_mul_f32 v179, 0xbf7ba420, v76 :: v_dual_add_f32 v44, v44, v43
	v_fmac_f32_e32 v135, 0x3f6eb680, v48
	s_delay_alu instid0(VALU_DEP_2) | instskip(SKIP_3) | instid1(VALU_DEP_4)
	v_add_f32_e32 v179, v201, v179
	v_dual_add_f32 v43, v188, v42 :: v_dual_mul_f32 v188, 0xbf7ba420, v73
	v_dual_add_f32 v45, v185, v45 :: v_dual_add_f32 v42, v192, v202
	v_sub_f32_e32 v185, v190, v196
	v_add_f32_e32 v44, v179, v44
	s_delay_alu instid0(VALU_DEP_4)
	v_sub_f32_e32 v188, v188, v189
	v_mul_f32_e32 v189, 0x3ee437d1, v81
	v_mul_f32_e32 v190, 0xbf59a7d5, v49
	v_add_f32_e32 v45, v185, v45
	v_mul_f32_e32 v185, 0x3ee437d1, v82
	v_mul_f32_e32 v179, 0xbe8c1d8e, v47
	s_delay_alu instid0(VALU_DEP_1) | instskip(SKIP_2) | instid1(VALU_DEP_3)
	v_dual_add_f32 v179, v182, v179 :: v_dual_add_f32 v182, v195, v185
	v_add_f32_e32 v184, v184, v190
	v_dual_add_f32 v185, v188, v45 :: v_dual_sub_f32 v188, v189, v191
	v_add_f32_e32 v179, v179, v9
	s_delay_alu instid0(VALU_DEP_4) | instskip(NEXT) | instid1(VALU_DEP_3)
	v_dual_add_f32 v45, v182, v44 :: v_dual_mul_f32 v182, 0xbe8c1d8e, v46
	v_dual_add_f32 v44, v188, v185 :: v_dual_mul_f32 v185, 0x3f3d2fb0, v51
	s_delay_alu instid0(VALU_DEP_3) | instskip(NEXT) | instid1(VALU_DEP_2)
	v_dual_add_f32 v179, v184, v179 :: v_dual_mul_f32 v184, 0xbf59a7d5, v48
	v_dual_mul_f32 v188, 0xbe8c1d8e, v66 :: v_dual_add_f32 v181, v181, v185
	v_mul_f32_e32 v185, 0x3ee437d1, v59
	v_dual_sub_f32 v171, v182, v171 :: v_dual_mul_f32 v182, 0x3f6eb680, v46
	s_delay_alu instid0(VALU_DEP_4) | instskip(NEXT) | instid1(VALU_DEP_4)
	v_dual_sub_f32 v173, v184, v173 :: v_dual_mul_f32 v184, 0x3f6eb680, v47
	v_add_f32_e32 v179, v181, v179
	s_delay_alu instid0(VALU_DEP_4) | instskip(NEXT) | instid1(VALU_DEP_4)
	v_dual_mul_f32 v181, 0x3f3d2fb0, v50 :: v_dual_add_f32 v180, v180, v185
	v_add_f32_e32 v171, v171, v8
	s_delay_alu instid0(VALU_DEP_4) | instskip(NEXT) | instid1(VALU_DEP_3)
	v_add_f32_e32 v60, v60, v184
	v_dual_sub_f32 v172, v181, v172 :: v_dual_mul_f32 v181, 0x3f3d2fb0, v47
	s_delay_alu instid0(VALU_DEP_2) | instskip(NEXT) | instid1(VALU_DEP_1)
	v_dual_add_f32 v171, v173, v171 :: v_dual_add_f32 v60, v60, v9
	v_dual_add_f32 v171, v172, v171 :: v_dual_mul_f32 v172, 0x3dbcf732, v70
	s_delay_alu instid0(VALU_DEP_1) | instskip(SKIP_1) | instid1(VALU_DEP_1)
	v_dual_add_f32 v172, v183, v172 :: v_dual_add_f32 v179, v180, v179
	v_mul_f32_e32 v180, 0x3ee437d1, v57
	v_sub_f32_e32 v170, v180, v170
	v_mul_f32_e32 v180, 0x3ee437d1, v47
	s_delay_alu instid0(VALU_DEP_2) | instskip(SKIP_1) | instid1(VALU_DEP_3)
	v_add_f32_e32 v170, v170, v171
	v_mul_f32_e32 v173, 0xbf7ba420, v63
	v_dual_add_f32 v79, v79, v180 :: v_dual_mul_f32 v180, 0xbe8c1d8e, v63
	s_delay_alu instid0(VALU_DEP_2) | instskip(NEXT) | instid1(VALU_DEP_1)
	v_dual_add_f32 v173, v178, v173 :: v_dual_mul_f32 v178, 0x3ee437d1, v46
	v_add_f32_e32 v173, v173, v179
	s_delay_alu instid0(VALU_DEP_2) | instskip(NEXT) | instid1(VALU_DEP_1)
	v_dual_mul_f32 v179, 0xbf7ba420, v61 :: v_dual_sub_f32 v72, v178, v72
	v_dual_mul_f32 v178, 0xbf7ba420, v82 :: v_dual_sub_f32 v177, v179, v177
	s_delay_alu instid0(VALU_DEP_2) | instskip(NEXT) | instid1(VALU_DEP_2)
	v_add_f32_e32 v72, v72, v8
	v_add_f32_e32 v170, v177, v170
	v_mul_f32_e32 v177, 0xbf1a4643, v82
	s_delay_alu instid0(VALU_DEP_1) | instskip(SKIP_1) | instid1(VALU_DEP_1)
	v_add_f32_e32 v177, v187, v177
	v_mul_f32_e32 v187, 0x3f6eb680, v73
	v_sub_f32_e32 v174, v187, v174
	v_dual_mul_f32 v185, 0x3f3d2fb0, v46 :: v_dual_add_f32 v172, v172, v173
	v_mul_f32_e32 v173, 0x3dbcf732, v66
	s_delay_alu instid0(VALU_DEP_2) | instskip(NEXT) | instid1(VALU_DEP_2)
	v_dual_mul_f32 v187, 0xbf1a4643, v81 :: v_dual_sub_f32 v64, v185, v64
	v_sub_f32_e32 v173, v173, v176
	s_delay_alu instid0(VALU_DEP_2) | instskip(NEXT) | instid1(VALU_DEP_3)
	v_dual_sub_f32 v175, v187, v175 :: v_dual_mul_f32 v176, 0x3f3d2fb0, v49
	v_add_f32_e32 v64, v64, v8
	s_delay_alu instid0(VALU_DEP_3) | instskip(SKIP_1) | instid1(VALU_DEP_2)
	v_dual_add_f32 v170, v173, v170 :: v_dual_mul_f32 v173, 0xbf7ba420, v49
	v_mul_f32_e32 v183, 0x3dbcf732, v46
	v_dual_add_f32 v65, v65, v176 :: v_dual_add_f32 v170, v174, v170
	s_delay_alu instid0(VALU_DEP_3) | instskip(NEXT) | instid1(VALU_DEP_3)
	v_dual_add_f32 v114, v114, v173 :: v_dual_mul_f32 v179, 0x3dbcf732, v47
	v_dual_sub_f32 v94, v183, v94 :: v_dual_mul_f32 v171, 0x3f6eb680, v76
	s_delay_alu instid0(VALU_DEP_3) | instskip(SKIP_1) | instid1(VALU_DEP_3)
	v_add_f32_e32 v170, v175, v170
	v_mul_f32_e32 v174, 0xbe8c1d8e, v51
	v_dual_add_f32 v105, v105, v179 :: v_dual_add_f32 v94, v94, v8
	s_delay_alu instid0(VALU_DEP_4) | instskip(SKIP_1) | instid1(VALU_DEP_4)
	v_add_f32_e32 v171, v186, v171
	v_mul_f32_e32 v175, 0x3ee437d1, v51
	v_add_f32_e32 v121, v121, v174
	s_delay_alu instid0(VALU_DEP_4) | instskip(SKIP_2) | instid1(VALU_DEP_3)
	v_add_f32_e32 v105, v105, v9
	v_add_f32_e32 v60, v65, v60
	v_mul_f32_e32 v174, 0x3ee437d1, v50
	v_dual_mul_f32 v186, 0x3f3d2fb0, v48 :: v_dual_add_f32 v105, v114, v105
	v_mul_f32_e32 v114, 0xbf7ba420, v48
	v_add_f32_e32 v171, v171, v172
	s_delay_alu instid0(VALU_DEP_3) | instskip(NEXT) | instid1(VALU_DEP_3)
	v_dual_mul_f32 v172, 0x3dbcf732, v48 :: v_dual_add_f32 v105, v121, v105
	v_sub_f32_e32 v108, v114, v108
	s_delay_alu instid0(VALU_DEP_3) | instskip(SKIP_1) | instid1(VALU_DEP_4)
	v_dual_mul_f32 v114, 0xbf7ba420, v50 :: v_dual_add_f32 v171, v177, v171
	v_mul_f32_e32 v177, 0x3f6eb680, v59
	v_sub_f32_e32 v71, v172, v71
	s_delay_alu instid0(VALU_DEP_4) | instskip(SKIP_4) | instid1(VALU_DEP_4)
	v_add_f32_e32 v94, v108, v94
	v_mul_f32_e32 v108, 0xbf59a7d5, v70
	v_sub_f32_e32 v90, v114, v90
	v_dual_add_f32 v122, v122, v177 :: v_dual_mul_f32 v177, 0x3ee437d1, v63
	v_mul_f32_e32 v173, 0xbf1a4643, v48
	v_add_f32_e32 v108, v133, v108
	s_delay_alu instid0(VALU_DEP_3) | instskip(SKIP_4) | instid1(VALU_DEP_4)
	v_dual_add_f32 v64, v71, v64 :: v_dual_add_f32 v105, v122, v105
	v_mul_f32_e32 v122, 0xbe8c1d8e, v50
	v_add_f32_e32 v130, v130, v177
	v_sub_f32_e32 v80, v173, v80
	v_mul_f32_e32 v114, 0x3f6eb680, v81
	v_sub_f32_e32 v113, v122, v113
	s_delay_alu instid0(VALU_DEP_4) | instskip(SKIP_2) | instid1(VALU_DEP_4)
	v_add_f32_e32 v105, v130, v105
	v_mul_f32_e32 v130, 0x3f6eb680, v57
	v_dual_mul_f32 v179, 0x3dbcf732, v49 :: v_dual_add_f32 v72, v80, v72
	v_dual_add_f32 v94, v113, v94 :: v_dual_mul_f32 v113, 0xbf1a4643, v76
	s_delay_alu instid0(VALU_DEP_3) | instskip(SKIP_1) | instid1(VALU_DEP_4)
	v_dual_sub_f32 v120, v130, v120 :: v_dual_mul_f32 v187, 0xbf1a4643, v49
	v_mul_f32_e32 v80, 0xbf7ba420, v81
	v_dual_add_f32 v72, v90, v72 :: v_dual_add_f32 v77, v77, v179
	v_mul_f32_e32 v90, 0xbf59a7d5, v81
	s_delay_alu instid0(VALU_DEP_4) | instskip(SKIP_4) | instid1(VALU_DEP_4)
	v_add_f32_e32 v94, v120, v94
	v_dual_mul_f32 v120, 0x3f3d2fb0, v82 :: v_dual_add_f32 v91, v91, v187
	v_mul_f32_e32 v130, 0xbf7ba420, v57
	v_mul_f32_e32 v122, 0x3dbcf732, v57
	v_sub_f32_e32 v36, v114, v118
	v_add_f32_e32 v120, v150, v120
	v_mul_f32_e32 v150, 0xbf59a7d5, v66
	s_delay_alu instid0(VALU_DEP_1) | instskip(SKIP_3) | instid1(VALU_DEP_4)
	v_dual_mul_f32 v121, 0xbf1a4643, v50 :: v_dual_sub_f32 v128, v150, v128
	v_mul_f32_e32 v150, 0xbf1a4643, v73
	v_mul_f32_e32 v177, 0xbf7ba420, v51
	v_add_f32_e32 v113, v145, v113
	v_sub_f32_e32 v78, v121, v78
	s_delay_alu instid0(VALU_DEP_4) | instskip(SKIP_4) | instid1(VALU_DEP_4)
	v_dual_sub_f32 v134, v150, v134 :: v_dual_add_f32 v105, v108, v105
	v_mul_f32_e32 v108, 0x3ee437d1, v61
	v_mul_f32_e32 v150, 0x3f3d2fb0, v61
	v_add_f32_e32 v79, v79, v9
	v_dual_mul_f32 v133, 0x3dbcf732, v59 :: v_dual_add_f32 v104, v104, v177
	v_sub_f32_e32 v108, v108, v127
	v_mul_f32_e32 v183, 0xbf1a4643, v51
	s_delay_alu instid0(VALU_DEP_4) | instskip(SKIP_1) | instid1(VALU_DEP_4)
	v_add_f32_e32 v79, v91, v79
	v_mul_f32_e32 v91, 0x3f3d2fb0, v81
	v_dual_mul_f32 v177, 0x3f3d2fb0, v63 :: v_dual_add_f32 v94, v108, v94
	s_delay_alu instid0(VALU_DEP_3) | instskip(NEXT) | instid1(VALU_DEP_3)
	v_dual_mul_f32 v108, 0xbe8c1d8e, v61 :: v_dual_add_f32 v79, v104, v79
	v_sub_f32_e32 v91, v91, v138
	v_mul_f32_e32 v138, 0xbf1a4643, v70
	s_delay_alu instid0(VALU_DEP_4) | instskip(SKIP_3) | instid1(VALU_DEP_4)
	v_dual_add_f32 v94, v128, v94 :: v_dual_mul_f32 v127, 0xbe8c1d8e, v57
	v_mul_f32_e32 v173, 0x3ee437d1, v76
	v_mul_f32_e32 v128, 0xbf59a7d5, v63
	v_add_f32_e32 v64, v78, v64
	v_add_f32_e32 v94, v134, v94
	v_dual_mul_f32 v134, 0xbf1a4643, v66 :: v_dual_add_f32 v105, v113, v105
	v_mul_f32_e32 v113, 0xbe8c1d8e, v59
	v_mul_f32_e32 v145, 0xbf7ba420, v59
	v_sub_f32_e32 v103, v127, v103
	v_add_f32_e32 v69, v69, v181
	v_add_f32_e32 v105, v120, v105
	;; [unrolled: 1-line block ×3, first 2 shown]
	v_dual_mul_f32 v120, 0xbf59a7d5, v76 :: v_dual_mul_f32 v187, 0xbf59a7d5, v61
	v_add_f32_e32 v104, v91, v94
	v_mul_f32_e32 v94, 0x3f6eb680, v70
	v_mul_f32_e32 v113, 0xbe8c1d8e, v70
	v_add_f32_e32 v117, v117, v177
	v_dual_mul_f32 v177, 0x3ee437d1, v73 :: v_dual_add_f32 v72, v103, v72
	s_delay_alu instid0(VALU_DEP_4) | instskip(SKIP_4) | instid1(VALU_DEP_4)
	v_add_f32_e32 v94, v124, v94
	v_dual_mul_f32 v124, 0x3dbcf732, v76 :: v_dual_add_f32 v79, v112, v79
	v_dual_mul_f32 v91, 0x3f6eb680, v66 :: v_dual_sub_f32 v78, v130, v89
	v_add_f32_e32 v65, v67, v175
	v_sub_f32_e32 v67, v188, v102
	v_add_f32_e32 v79, v117, v79
	v_mul_f32_e32 v117, 0x3dbcf732, v73
	v_dual_sub_f32 v91, v91, v119 :: v_dual_add_f32 v64, v78, v64
	s_delay_alu instid0(VALU_DEP_3) | instskip(SKIP_3) | instid1(VALU_DEP_3)
	v_dual_add_f32 v28, v65, v60 :: v_dual_add_f32 v79, v94, v79
	v_dual_sub_f32 v94, v150, v111 :: v_dual_add_f32 v69, v69, v9
	v_sub_f32_e32 v30, v177, v110
	v_mul_f32_e32 v112, 0xbf59a7d5, v73
	v_dual_add_f32 v94, v94, v72 :: v_dual_add_f32 v69, v77, v69
	v_dual_add_f32 v77, v88, v183 :: v_dual_add_f32 v88, v131, v124
	s_delay_alu instid0(VALU_DEP_1) | instskip(SKIP_1) | instid1(VALU_DEP_1)
	v_add_f32_e32 v79, v88, v79
	v_mul_f32_e32 v127, 0xbf59a7d5, v82
	v_dual_mul_f32 v179, 0x3f6eb680, v82 :: v_dual_add_f32 v88, v132, v127
	s_delay_alu instid0(VALU_DEP_1) | instskip(SKIP_4) | instid1(VALU_DEP_2)
	v_add_f32_e32 v72, v88, v79
	v_sub_f32_e32 v88, v117, v125
	v_add_f32_e32 v69, v77, v69
	v_add_f32_e32 v77, v96, v145
	;; [unrolled: 1-line block ×5, first 2 shown]
	s_delay_alu instid0(VALU_DEP_3) | instskip(NEXT) | instid1(VALU_DEP_2)
	v_dual_add_f32 v79, v88, v79 :: v_dual_sub_f32 v88, v90, v129
	v_add_f32_e32 v69, v77, v69
	v_add_f32_e32 v77, v116, v113
	s_delay_alu instid0(VALU_DEP_3) | instskip(SKIP_1) | instid1(VALU_DEP_3)
	v_add_f32_e32 v71, v88, v79
	v_add_f32_e32 v79, v11, v9
	;; [unrolled: 1-line block ×4, first 2 shown]
	s_delay_alu instid0(VALU_DEP_3) | instskip(NEXT) | instid1(VALU_DEP_1)
	v_add_f32_e32 v29, v29, v79
	v_add_f32_e32 v29, v31, v29
	;; [unrolled: 1-line block ×3, first 2 shown]
	s_delay_alu instid0(VALU_DEP_4) | instskip(NEXT) | instid1(VALU_DEP_2)
	v_add_f32_e32 v69, v77, v69
	v_dual_add_f32 v77, v126, v179 :: v_dual_add_f32 v28, v31, v28
	v_add_f32_e32 v31, v83, v180
	s_delay_alu instid0(VALU_DEP_2) | instskip(SKIP_1) | instid1(VALU_DEP_3)
	v_add_f32_e32 v11, v77, v69
	v_sub_f32_e32 v69, v187, v92
	v_dual_add_f32 v28, v31, v28 :: v_dual_add_f32 v31, v38, v10
	s_delay_alu instid0(VALU_DEP_1) | instskip(SKIP_1) | instid1(VALU_DEP_1)
	v_dual_add_f32 v64, v69, v64 :: v_dual_add_f32 v31, v32, v31
	v_dual_add_f32 v32, v106, v120 :: v_dual_add_f32 v29, v37, v29
	v_add_f32_e32 v29, v39, v29
	s_delay_alu instid0(VALU_DEP_1) | instskip(SKIP_1) | instid1(VALU_DEP_1)
	v_add_f32_e32 v29, v33, v29
	v_add_f32_e32 v33, v93, v138
	;; [unrolled: 1-line block ×4, first 2 shown]
	s_delay_alu instid0(VALU_DEP_2) | instskip(SKIP_1) | instid1(VALU_DEP_3)
	v_add_f32_e32 v28, v32, v28
	v_add_f32_e32 v32, v115, v178
	v_dual_add_f32 v29, v35, v29 :: v_dual_add_f32 v30, v30, v60
	s_delay_alu instid0(VALU_DEP_1) | instskip(NEXT) | instid1(VALU_DEP_2)
	v_add_f32_e32 v25, v25, v29
	v_dual_add_f32 v29, v34, v31 :: v_dual_add_f32 v10, v36, v30
	v_sub_f32_e32 v30, v182, v56
	v_sub_f32_e32 v31, v186, v58
	s_delay_alu instid0(VALU_DEP_4) | instskip(NEXT) | instid1(VALU_DEP_4)
	v_add_f32_e32 v25, v27, v25
	v_add_f32_e32 v27, v24, v29
	;; [unrolled: 1-line block ×4, first 2 shown]
	s_delay_alu instid0(VALU_DEP_4) | instskip(NEXT) | instid1(VALU_DEP_4)
	v_dual_sub_f32 v28, v122, v68 :: v_dual_add_f32 v21, v21, v25
	v_add_f32_e32 v25, v26, v27
	v_fma_f32 v26, 0xbf7ba420, v47, -v149
	s_delay_alu instid0(VALU_DEP_2) | instskip(SKIP_1) | instid1(VALU_DEP_2)
	v_add_f32_e32 v20, v20, v25
	v_fma_f32 v25, 0x3f6eb680, v49, -v148
	v_add_f32_e32 v20, v22, v20
	v_fma_f32 v22, 0xbf59a7d5, v51, -v153
	s_delay_alu instid0(VALU_DEP_2) | instskip(SKIP_1) | instid1(VALU_DEP_2)
	v_add_f32_e32 v16, v16, v20
	v_fma_f32 v20, 0x3f3d2fb0, v59, -v154
	;; [unrolled: 5-line block ×3, first 2 shown]
	v_dual_add_f32 v12, v14, v12 :: v_dual_add_f32 v21, v23, v21
	v_add_f32_e32 v23, v26, v9
	v_fma_f32 v14, 0xbe8c1d8e, v76, -v159
	s_delay_alu instid0(VALU_DEP_3) | instskip(SKIP_3) | instid1(VALU_DEP_3)
	v_add_f32_e32 v4, v4, v12
	v_fma_f32 v12, 0xbf59a7d5, v47, -v155
	v_add_f32_e32 v17, v17, v21
	v_add_f32_e32 v21, v25, v23
	;; [unrolled: 1-line block ×3, first 2 shown]
	v_fma_f32 v12, 0x3ee437d1, v49, -v162
	s_delay_alu instid0(VALU_DEP_4) | instskip(NEXT) | instid1(VALU_DEP_4)
	v_add_f32_e32 v17, v19, v17
	v_dual_add_f32 v19, v22, v21 :: v_dual_sub_f32 v22, v112, v95
	v_add_f32_e32 v29, v31, v30
	s_delay_alu instid0(VALU_DEP_4) | instskip(SKIP_4) | instid1(VALU_DEP_4)
	v_add_f32_e32 v9, v12, v9
	v_fma_f32 v12, 0x3dbcf732, v51, -v163
	v_add_f32_e32 v13, v13, v17
	v_dual_add_f32 v17, v20, v19 :: v_dual_sub_f32 v30, v174, v62
	v_sub_f32_e32 v20, v80, v107
	v_add_f32_e32 v9, v12, v9
	v_fma_f32 v12, 0xbf1a4643, v59, -v164
	v_add_f32_e32 v13, v15, v13
	v_add_f32_e32 v15, v18, v17
	v_fma_f32 v17, 0xbe8c1d8e, v82, -v168
	s_delay_alu instid0(VALU_DEP_4) | instskip(SKIP_3) | instid1(VALU_DEP_3)
	v_add_f32_e32 v9, v12, v9
	v_fma_f32 v12, 0x3f6eb680, v63, -v165
	v_add_f32_e32 v5, v5, v13
	v_dual_add_f32 v13, v16, v15 :: v_dual_and_b32 v16, 0xffff, v101
	v_add_f32_e32 v9, v12, v9
	v_fma_f32 v12, 0xbf7ba420, v70, -v166
	s_delay_alu instid0(VALU_DEP_3) | instskip(NEXT) | instid1(VALU_DEP_4)
	v_add_f32_e32 v13, v14, v13
	v_add_lshl_u32 v16, v99, v16, 3
	s_delay_alu instid0(VALU_DEP_3) | instskip(SKIP_3) | instid1(VALU_DEP_3)
	v_add_f32_e32 v9, v12, v9
	v_fma_f32 v12, 0x3f3d2fb0, v76, -v167
	v_add_f32_e32 v15, v146, v8
	v_add_f32_e32 v8, v157, v8
	;; [unrolled: 1-line block ×3, first 2 shown]
	s_delay_alu instid0(VALU_DEP_3) | instskip(NEXT) | instid1(VALU_DEP_3)
	v_dual_add_f32 v27, v30, v29 :: v_dual_add_f32 v14, v135, v15
	v_add_f32_e32 v8, v160, v8
	v_fma_f32 v15, 0x3dbcf732, v82, -v144
	s_delay_alu instid0(VALU_DEP_3) | instskip(SKIP_2) | instid1(VALU_DEP_4)
	v_add_f32_e32 v26, v28, v27
	v_sub_f32_e32 v27, v108, v75
	v_dual_add_f32 v14, v136, v14 :: v_dual_sub_f32 v25, v134, v87
	v_dual_add_f32 v8, v161, v8 :: v_dual_add_f32 v9, v15, v13
	s_delay_alu instid0(VALU_DEP_3) | instskip(NEXT) | instid1(VALU_DEP_3)
	v_add_f32_e32 v23, v27, v26
	v_add_f32_e32 v14, v137, v14
	;; [unrolled: 1-line block ×3, first 2 shown]
	s_delay_alu instid0(VALU_DEP_3) | instskip(NEXT) | instid1(VALU_DEP_3)
	v_dual_add_f32 v8, v143, v8 :: v_dual_add_f32 v21, v25, v23
	v_add_f32_e32 v14, v140, v14
	s_delay_alu instid0(VALU_DEP_2) | instskip(NEXT) | instid1(VALU_DEP_2)
	v_dual_add_f32 v8, v151, v8 :: v_dual_add_f32 v19, v22, v21
	v_add_f32_e32 v14, v141, v14
	s_delay_alu instid0(VALU_DEP_2) | instskip(NEXT) | instid1(VALU_DEP_2)
	v_add_f32_e32 v8, v152, v8
	v_dual_add_f32 v23, v20, v19 :: v_dual_add_f32 v14, v142, v14
	s_delay_alu instid0(VALU_DEP_2) | instskip(NEXT) | instid1(VALU_DEP_2)
	v_add_f32_e32 v18, v139, v8
	v_add_f32_e32 v8, v147, v14
	s_delay_alu instid0(VALU_DEP_2)
	v_add_f32_e32 v12, v169, v18
	ds_store_2addr_b64 v16, v[4:5], v[23:24] offset1:1
	ds_store_2addr_b64 v16, v[10:11], v[71:72] offset0:2 offset1:3
	ds_store_2addr_b64 v16, v[104:105], v[170:171] offset0:4 offset1:5
	;; [unrolled: 1-line block ×7, first 2 shown]
	ds_store_b64 v16, v[85:86] offset:128
.LBB0_7:
	s_wait_alu 0xfffe
	s_or_b32 exec_lo, exec_lo, s0
	v_and_b32_e32 v4, 0xff, v98
	s_load_b128 s[4:7], s[4:5], 0x0
	global_wb scope:SCOPE_SE
	s_wait_dscnt 0x0
	s_wait_kmcnt 0x0
	s_barrier_signal -1
	s_barrier_wait -1
	v_mul_lo_u16 v4, 0xf1, v4
	global_inv scope:SCOPE_SE
	v_add_lshl_u32 v102, v99, v98, 3
	v_cmp_gt_u16_e64 s0, 17, v98
	v_lshrrev_b16 v4, 12, v4
	s_delay_alu instid0(VALU_DEP_1) | instskip(NEXT) | instid1(VALU_DEP_1)
	v_mul_lo_u16 v5, v4, 17
	v_sub_nc_u16 v5, v98, v5
	s_delay_alu instid0(VALU_DEP_1) | instskip(NEXT) | instid1(VALU_DEP_1)
	v_and_b32_e32 v5, 0xff, v5
	v_mul_u32_u24_e32 v8, 10, v5
	s_delay_alu instid0(VALU_DEP_1)
	v_lshlrev_b32_e32 v8, 3, v8
	s_clause 0x4
	global_load_b128 v[32:35], v8, s[2:3]
	global_load_b128 v[28:31], v8, s[2:3] offset:16
	global_load_b128 v[20:23], v8, s[2:3] offset:32
	;; [unrolled: 1-line block ×4, first 2 shown]
	ds_load_2addr_b64 v[36:39], v102 offset0:170 offset1:255
	ds_load_2addr_b64 v[8:11], v102 offset1:85
	v_add_nc_u32_e32 v60, 0x800, v102
	v_and_b32_e32 v4, 0xffff, v4
	v_add_nc_u32_e32 v13, 0xc00, v102
	ds_load_2addr_b64 v[40:43], v60 offset0:84 offset1:169
	v_add_nc_u32_e32 v12, 0x1000, v102
	v_add_nc_u32_e32 v61, 0x1400, v102
	s_wait_loadcnt_dscnt 0x300
	v_dual_mul_f32 v15, v10, v33 :: v_dual_mul_f32 v62, v41, v31
	v_mul_f32_e32 v59, v38, v29
	v_mul_u32_u24_e32 v4, 0xbb, v4
	s_wait_loadcnt 0x2
	v_dual_mul_f32 v56, v37, v35 :: v_dual_mul_f32 v65, v42, v21
	ds_load_2addr_b64 v[48:51], v12 offset0:168 offset1:253
	v_dual_fmac_f32 v15, v11, v32 :: v_dual_add_nc_u32 v14, v4, v5
	ds_load_b64 v[4:5], v102 offset:6800
	v_dual_mul_f32 v57, v36, v35 :: v_dual_mul_f32 v58, v39, v29
	v_mul_f32_e32 v63, v40, v31
	v_add_lshl_u32 v103, v99, v14, 3
	v_mul_f32_e32 v14, v11, v33
	ds_load_2addr_b64 v[44:47], v13 offset0:126 offset1:211
	v_add_nc_u32_e32 v13, 0x400, v102
	v_fma_f32 v11, v36, v34, -v56
	v_fma_f32 v36, v40, v30, -v62
	;; [unrolled: 1-line block ×3, first 2 shown]
	v_mul_f32_e32 v64, v43, v21
	v_fma_f32 v14, v38, v28, -v58
	v_fmac_f32_e32 v65, v43, v20
	global_wb scope:SCOPE_SE
	s_wait_loadcnt_dscnt 0x0
	s_barrier_signal -1
	s_barrier_wait -1
	v_dual_mul_f32 v70, v49, v19 :: v_dual_mul_f32 v73, v50, v25
	v_dual_mul_f32 v72, v51, v25 :: v_dual_mul_f32 v75, v4, v27
	v_dual_mul_f32 v74, v5, v27 :: v_dual_fmac_f32 v59, v39, v28
	v_mul_f32_e32 v71, v48, v19
	s_delay_alu instid0(VALU_DEP_4)
	v_fma_f32 v40, v48, v18, -v70
	global_inv scope:SCOPE_SE
	v_mul_f32_e32 v68, v47, v17
	v_dual_mul_f32 v66, v45, v23 :: v_dual_mul_f32 v69, v46, v17
	v_mul_f32_e32 v67, v44, v23
	v_fma_f32 v48, v4, v26, -v74
	s_delay_alu instid0(VALU_DEP_4) | instskip(SKIP_3) | instid1(VALU_DEP_4)
	v_fma_f32 v39, v46, v16, -v68
	v_fmac_f32_e32 v71, v49, v18
	v_fma_f32 v46, v50, v24, -v72
	v_dual_fmac_f32 v73, v51, v24 :: v_dual_add_f32 v4, v8, v10
	v_dual_add_f32 v58, v36, v39 :: v_dual_fmac_f32 v75, v5, v26
	s_delay_alu instid0(VALU_DEP_4)
	v_dual_sub_f32 v56, v59, v71 :: v_dual_fmac_f32 v57, v37, v34
	v_fmac_f32_e32 v63, v41, v30
	v_fma_f32 v37, v42, v20, -v64
	v_fma_f32 v38, v44, v22, -v66
	v_dual_fmac_f32 v67, v45, v22 :: v_dual_add_f32 v50, v59, v71
	v_add_f32_e32 v42, v15, v75
	v_dual_sub_f32 v45, v11, v46 :: v_dual_sub_f32 v64, v36, v39
	s_delay_alu instid0(VALU_DEP_3) | instskip(SKIP_2) | instid1(VALU_DEP_3)
	v_dual_sub_f32 v74, v65, v67 :: v_dual_fmac_f32 v69, v47, v16
	v_dual_add_f32 v44, v57, v73 :: v_dual_add_f32 v41, v10, v48
	v_dual_sub_f32 v10, v10, v48 :: v_dual_add_f32 v5, v9, v15
	v_add_f32_e32 v62, v63, v69
	v_dual_sub_f32 v15, v15, v75 :: v_dual_add_f32 v68, v37, v38
	v_dual_sub_f32 v47, v57, v73 :: v_dual_add_f32 v4, v4, v11
	v_dual_add_f32 v43, v11, v46 :: v_dual_add_f32 v70, v65, v67
	v_dual_add_f32 v49, v14, v40 :: v_dual_sub_f32 v72, v37, v38
	s_delay_alu instid0(VALU_DEP_4)
	v_dual_sub_f32 v51, v14, v40 :: v_dual_mul_f32 v76, 0xbf68dda4, v15
	v_sub_f32_e32 v66, v63, v69
	v_dual_add_f32 v5, v5, v57 :: v_dual_mul_f32 v78, 0xbf7d64f0, v15
	v_dual_mul_f32 v11, 0xbf0a6770, v15 :: v_dual_mul_f32 v106, 0xbf0a6770, v56
	v_dual_mul_f32 v83, 0xbf68dda4, v45 :: v_dual_add_f32 v4, v4, v14
	v_mul_f32_e32 v57, 0xbf0a6770, v10
	v_dual_mul_f32 v77, 0xbf68dda4, v10 :: v_dual_mul_f32 v82, 0xbf68dda4, v47
	v_dual_mul_f32 v79, 0xbf7d64f0, v10 :: v_dual_mul_f32 v94, 0xbf7d64f0, v51
	;; [unrolled: 1-line block ×5, first 2 shown]
	v_dual_mul_f32 v122, 0x3f68dda4, v74 :: v_dual_add_f32 v5, v5, v59
	v_fma_f32 v14, 0x3f575c64, v41, -v11
	v_fma_f32 v144, 0x3f575c64, v49, -v106
	v_fmac_f32_e32 v106, 0x3f575c64, v49
	v_dual_add_f32 v4, v4, v36 :: v_dual_fmamk_f32 v59, v42, 0x3f575c64, v57
	v_mul_f32_e32 v113, 0xbf0a6770, v64
	v_dual_mul_f32 v87, 0xbf4178ce, v47 :: v_dual_mul_f32 v88, 0xbf4178ce, v45
	v_dual_mul_f32 v89, 0x3e903f40, v47 :: v_dual_mul_f32 v90, 0x3e903f40, v45
	;; [unrolled: 1-line block ×4, first 2 shown]
	v_dual_mul_f32 v45, 0x3f0a6770, v45 :: v_dual_add_f32 v14, v8, v14
	v_mul_f32_e32 v93, 0xbf7d64f0, v56
	v_dual_mul_f32 v95, 0x3e903f40, v56 :: v_dual_mul_f32 v96, 0x3e903f40, v51
	v_dual_mul_f32 v104, 0x3f68dda4, v56 :: v_dual_mul_f32 v105, 0x3f68dda4, v51
	;; [unrolled: 1-line block ×7, first 2 shown]
	v_dual_mul_f32 v64, 0x3f68dda4, v64 :: v_dual_add_f32 v5, v5, v63
	v_dual_mul_f32 v116, 0xbe903f40, v74 :: v_dual_mul_f32 v117, 0xbe903f40, v72
	v_dual_mul_f32 v120, 0xbf4178ce, v74 :: v_dual_mul_f32 v121, 0xbf4178ce, v72
	v_mul_f32_e32 v74, 0xbf7d64f0, v74
	v_fmac_f32_e32 v11, 0x3f575c64, v41
	v_fma_f32 v57, 0x3f575c64, v42, -v57
	v_fma_f32 v124, 0x3ed4b147, v41, -v76
	v_dual_fmamk_f32 v125, v42, 0x3ed4b147, v77 :: v_dual_fmac_f32 v76, 0x3ed4b147, v41
	v_fma_f32 v77, 0x3ed4b147, v42, -v77
	v_mul_f32_e32 v119, 0x3f0a6770, v72
	v_fma_f32 v126, 0xbe11bafb, v41, -v78
	v_dual_fmamk_f32 v127, v42, 0xbe11bafb, v79 :: v_dual_fmac_f32 v78, 0xbe11bafb, v41
	v_fma_f32 v79, 0xbe11bafb, v42, -v79
	v_fma_f32 v128, 0xbf27a4f4, v41, -v80
	v_dual_fmamk_f32 v129, v42, 0xbf27a4f4, v81 :: v_dual_fmac_f32 v80, 0xbf27a4f4, v41
	v_fma_f32 v81, 0xbf27a4f4, v42, -v81
	v_fma_f32 v130, 0xbf75a155, v41, -v15
	v_fmamk_f32 v131, v42, 0xbf75a155, v10
	v_fmac_f32_e32 v15, 0xbf75a155, v41
	v_fma_f32 v10, 0xbf75a155, v42, -v10
	v_fma_f32 v41, 0x3ed4b147, v43, -v82
	v_dual_fmamk_f32 v42, v44, 0x3ed4b147, v83 :: v_dual_fmamk_f32 v155, v62, 0x3ed4b147, v64
	v_fma_f32 v150, 0x3f575c64, v58, -v112
	v_fmac_f32_e32 v112, 0x3f575c64, v58
	v_dual_mul_f32 v72, 0xbf7d64f0, v72 :: v_dual_add_f32 v11, v8, v11
	v_dual_add_f32 v36, v9, v59 :: v_dual_fmamk_f32 v151, v62, 0x3f575c64, v113
	v_add_f32_e32 v4, v4, v37
	v_dual_fmac_f32 v82, 0x3ed4b147, v43 :: v_dual_fmamk_f32 v143, v50, 0x3ed4b147, v105
	v_fma_f32 v83, 0x3ed4b147, v44, -v83
	v_fma_f32 v132, 0xbf27a4f4, v43, -v87
	v_fmamk_f32 v133, v44, 0xbf27a4f4, v88
	v_fmac_f32_e32 v87, 0xbf27a4f4, v43
	v_fma_f32 v88, 0xbf27a4f4, v44, -v88
	v_fma_f32 v134, 0xbf75a155, v43, -v89
	v_fmamk_f32 v135, v44, 0xbf75a155, v90
	v_fmac_f32_e32 v89, 0xbf75a155, v43
	;; [unrolled: 4-line block ×4, first 2 shown]
	v_fma_f32 v43, 0x3f575c64, v44, -v45
	v_fma_f32 v44, 0xbe11bafb, v49, -v93
	v_dual_fmamk_f32 v45, v50, 0xbe11bafb, v94 :: v_dual_add_f32 v78, v8, v78
	v_fmac_f32_e32 v93, 0xbe11bafb, v49
	v_fma_f32 v94, 0xbe11bafb, v50, -v94
	v_fma_f32 v140, 0xbf75a155, v49, -v95
	v_fmamk_f32 v141, v50, 0xbf75a155, v96
	v_dual_fmac_f32 v95, 0xbf75a155, v49 :: v_dual_add_f32 v80, v8, v80
	v_fma_f32 v96, 0xbf75a155, v50, -v96
	v_fma_f32 v142, 0x3ed4b147, v49, -v104
	v_dual_fmac_f32 v104, 0x3ed4b147, v49 :: v_dual_fmamk_f32 v161, v70, 0x3ed4b147, v123
	v_fma_f32 v105, 0x3ed4b147, v50, -v105
	v_fmamk_f32 v145, v50, 0x3f575c64, v107
	v_fma_f32 v107, 0x3f575c64, v50, -v107
	v_fma_f32 v146, 0xbf27a4f4, v49, -v56
	v_dual_fmamk_f32 v147, v50, 0xbf27a4f4, v51 :: v_dual_fmac_f32 v56, 0xbf27a4f4, v49
	v_fma_f32 v49, 0xbf27a4f4, v50, -v51
	v_fma_f32 v50, 0xbf27a4f4, v58, -v108
	v_dual_fmac_f32 v108, 0xbf27a4f4, v58 :: v_dual_fmamk_f32 v51, v62, 0xbf27a4f4, v109
	v_fma_f32 v109, 0xbf27a4f4, v62, -v109
	v_fma_f32 v148, 0xbe11bafb, v58, -v110
	v_fmac_f32_e32 v110, 0xbe11bafb, v58
	v_fma_f32 v113, 0x3f575c64, v62, -v113
	v_fma_f32 v152, 0xbf75a155, v58, -v114
	v_fmac_f32_e32 v114, 0xbf75a155, v58
	v_fmamk_f32 v149, v62, 0xbe11bafb, v111
	v_fma_f32 v111, 0xbe11bafb, v62, -v111
	v_fma_f32 v154, 0x3ed4b147, v58, -v66
	v_dual_fmac_f32 v66, 0x3ed4b147, v58 :: v_dual_add_f32 v57, v9, v57
	v_fma_f32 v58, 0x3ed4b147, v62, -v64
	v_fmamk_f32 v64, v70, 0xbf75a155, v117
	v_fma_f32 v117, 0xbf75a155, v70, -v117
	v_fma_f32 v156, 0x3f575c64, v68, -v118
	v_fmac_f32_e32 v118, 0x3f575c64, v68
	v_fma_f32 v158, 0xbf27a4f4, v68, -v120
	v_fmac_f32_e32 v120, 0xbf27a4f4, v68
	v_fma_f32 v160, 0x3ed4b147, v68, -v122
	v_dual_fmac_f32 v122, 0x3ed4b147, v68 :: v_dual_add_f32 v63, v9, v125
	v_fma_f32 v123, 0x3ed4b147, v70, -v123
	v_fma_f32 v162, 0xbe11bafb, v68, -v74
	v_fmac_f32_e32 v74, 0xbe11bafb, v68
	v_add_f32_e32 v59, v8, v124
	v_fmamk_f32 v153, v62, 0xbf75a155, v115
	v_fma_f32 v115, 0xbf75a155, v62, -v115
	v_fma_f32 v62, 0xbf75a155, v68, -v116
	v_fmac_f32_e32 v116, 0xbf75a155, v68
	v_fma_f32 v68, 0xbe11bafb, v70, -v72
	v_dual_add_f32 v124, v8, v128 :: v_dual_fmamk_f32 v159, v70, 0xbf27a4f4, v121
	v_fma_f32 v121, 0xbf27a4f4, v70, -v121
	v_dual_add_f32 v125, v9, v129 :: v_dual_add_f32 v4, v4, v38
	v_dual_fmamk_f32 v163, v70, 0xbe11bafb, v72 :: v_dual_add_f32 v72, v9, v77
	v_fmamk_f32 v157, v70, 0x3f575c64, v119
	v_fma_f32 v119, 0x3f575c64, v70, -v119
	v_add_f32_e32 v70, v8, v76
	v_dual_add_f32 v76, v8, v126 :: v_dual_add_f32 v77, v9, v127
	v_dual_add_f32 v81, v9, v81 :: v_dual_add_f32 v126, v8, v130
	v_add_f32_e32 v127, v9, v131
	v_add_f32_e32 v8, v8, v15
	;; [unrolled: 1-line block ×6, first 2 shown]
	v_dual_add_f32 v11, v82, v11 :: v_dual_add_f32 v8, v47, v8
	v_add_f32_e32 v15, v83, v57
	v_dual_add_f32 v41, v87, v70 :: v_dual_add_f32 v4, v4, v39
	s_delay_alu instid0(VALU_DEP_4) | instskip(SKIP_3) | instid1(VALU_DEP_4)
	v_dual_add_f32 v14, v45, v14 :: v_dual_add_f32 v57, v134, v76
	v_add_f32_e32 v42, v88, v72
	v_add_f32_e32 v76, v91, v80
	;; [unrolled: 1-line block ×3, first 2 shown]
	v_dual_add_f32 v14, v51, v14 :: v_dual_add_f32 v37, v133, v63
	v_add_f32_e32 v63, v89, v78
	v_add_f32_e32 v78, v138, v126
	v_dual_add_f32 v36, v132, v59 :: v_dual_add_f32 v59, v135, v77
	v_add_f32_e32 v10, v50, v10
	v_add_f32_e32 v38, v95, v41
	v_add_f32_e32 v77, v92, v81
	s_delay_alu instid0(VALU_DEP_4) | instskip(SKIP_3) | instid1(VALU_DEP_4)
	v_add_f32_e32 v36, v140, v36
	v_add_f32_e32 v70, v136, v124
	;; [unrolled: 1-line block ×3, first 2 shown]
	v_dual_add_f32 v38, v110, v38 :: v_dual_add_f32 v9, v43, v9
	v_dual_add_f32 v36, v148, v36 :: v_dual_add_f32 v5, v5, v65
	v_add_f32_e32 v44, v104, v63
	v_add_f32_e32 v65, v90, v79
	;; [unrolled: 1-line block ×3, first 2 shown]
	s_delay_alu instid0(VALU_DEP_4) | instskip(SKIP_1) | instid1(VALU_DEP_4)
	v_dual_add_f32 v8, v56, v8 :: v_dual_add_f32 v5, v5, v67
	v_add_f32_e32 v11, v93, v11
	v_add_f32_e32 v45, v105, v65
	v_add_f32_e32 v65, v146, v78
	s_delay_alu instid0(VALU_DEP_1) | instskip(SKIP_2) | instid1(VALU_DEP_2)
	v_add_f32_e32 v51, v154, v65
	v_add_f32_e32 v63, v107, v77
	v_dual_add_f32 v41, v96, v42 :: v_dual_add_f32 v42, v142, v57
	v_dual_add_f32 v57, v145, v72 :: v_dual_add_f32 v50, v115, v63
	s_delay_alu instid0(VALU_DEP_2) | instskip(NEXT) | instid1(VALU_DEP_3)
	v_add_f32_e32 v39, v111, v41
	v_add_f32_e32 v41, v150, v42
	v_add_f32_e32 v43, v143, v59
	s_delay_alu instid0(VALU_DEP_1)
	v_dual_add_f32 v37, v141, v37 :: v_dual_add_f32 v42, v151, v43
	v_add_f32_e32 v43, v112, v44
	v_dual_add_f32 v59, v106, v76 :: v_dual_add_f32 v44, v113, v45
	v_add_f32_e32 v45, v152, v47
	v_add_f32_e32 v47, v153, v57
	;; [unrolled: 1-line block ×3, first 2 shown]
	v_dual_add_f32 v8, v62, v10 :: v_dual_add_f32 v9, v49, v9
	v_dual_add_f32 v79, v139, v127 :: v_dual_add_f32 v10, v156, v36
	v_add_f32_e32 v5, v5, v69
	v_add_f32_e32 v15, v94, v15
	;; [unrolled: 1-line block ×3, first 2 shown]
	s_delay_alu instid0(VALU_DEP_4)
	v_dual_add_f32 v58, v58, v9 :: v_dual_add_f32 v67, v147, v79
	v_add_f32_e32 v9, v64, v14
	v_dual_add_f32 v14, v118, v38 :: v_dual_add_f32 v11, v108, v11
	v_add_f32_e32 v38, v120, v43
	v_add_f32_e32 v49, v114, v59
	;; [unrolled: 1-line block ×4, first 2 shown]
	v_dual_add_f32 v4, v116, v11 :: v_dual_add_f32 v11, v157, v37
	v_dual_add_f32 v37, v159, v42 :: v_dual_add_f32 v40, v160, v45
	;; [unrolled: 1-line block ×4, first 2 shown]
	v_add_f32_e32 v56, v155, v67
	v_dual_add_f32 v36, v158, v41 :: v_dual_add_f32 v43, v123, v50
	s_delay_alu instid0(VALU_DEP_4)
	v_dual_add_f32 v50, v63, v73 :: v_dual_add_f32 v5, v117, v15
	v_add_f32_e32 v15, v119, v39
	v_add_f32_e32 v39, v121, v44
	;; [unrolled: 1-line block ×3, first 2 shown]
	v_dual_add_f32 v44, v162, v51 :: v_dual_add_f32 v45, v163, v56
	v_add_f32_e32 v47, v68, v58
	ds_store_2addr_b64 v103, v[10:11], v[36:37] offset0:34 offset1:51
	v_dual_add_f32 v10, v49, v48 :: v_dual_add_f32 v11, v50, v75
	ds_store_2addr_b64 v103, v[40:41], v[44:45] offset0:68 offset1:85
	ds_store_2addr_b64 v103, v[46:47], v[42:43] offset0:102 offset1:119
	;; [unrolled: 1-line block ×3, first 2 shown]
	ds_store_b64 v103, v[4:5] offset:1360
	ds_store_2addr_b64 v103, v[10:11], v[8:9] offset1:17
	global_wb scope:SCOPE_SE
	s_wait_dscnt 0x0
	s_barrier_signal -1
	s_barrier_wait -1
	global_inv scope:SCOPE_SE
	ds_load_2addr_b64 v[56:59], v102 offset1:85
	ds_load_2addr_b64 v[72:75], v13 offset0:59 offset1:144
	ds_load_2addr_b64 v[68:71], v60 offset0:118 offset1:203
	;; [unrolled: 1-line block ×4, first 2 shown]
	s_and_saveexec_b32 s1, s0
	s_cbranch_execz .LBB0_9
; %bb.8:
	ds_load_2addr_b64 v[4:7], v13 offset0:42 offset1:229
	ds_load_2addr_b64 v[52:55], v12 offset0:32 offset1:219
	ds_load_b64 v[0:1], v102 offset:7344
.LBB0_9:
	s_wait_alu 0xfffe
	s_or_b32 exec_lo, exec_lo, s1
	v_lshlrev_b32_e32 v8, 5, v98
	v_lshl_add_u32 v104, v98, 3, v100
	s_clause 0x1
	global_load_b128 v[44:47], v8, s[2:3] offset:1360
	global_load_b128 v[40:43], v8, s[2:3] offset:1376
	v_add_nc_u32_e32 v87, 0x400, v104
	s_wait_loadcnt_dscnt 0x103
	v_dual_mul_f32 v77, v72, v45 :: v_dual_add_nc_u32 v88, 0x1000, v104
	s_wait_loadcnt_dscnt 0x1
	v_dual_mul_f32 v81, v64, v41 :: v_dual_add_nc_u32 v8, 0xaa0, v8
	v_dual_mul_f32 v79, v68, v47 :: v_dual_mul_f32 v76, v73, v45
	s_clause 0x1
	global_load_b128 v[48:51], v8, s[2:3] offset:1360
	global_load_b128 v[36:39], v8, s[2:3] offset:1376
	v_add_co_u32 v8, s1, 0xaa, v98
	s_wait_alu 0xf1ff
	v_add_co_ci_u32_e64 v9, null, 0, 0, s1
	v_add_co_u32 v10, s1, 0xffffffef, v98
	s_wait_alu 0xf1ff
	v_add_co_ci_u32_e64 v11, null, 0, -1, s1
	v_add_nc_u32_e32 v105, v97, v100
	s_delay_alu instid0(VALU_DEP_3) | instskip(SKIP_1) | instid1(VALU_DEP_4)
	v_cndmask_b32_e64 v8, v10, v8, s0
	v_mul_f32_e32 v80, v65, v41
	v_cndmask_b32_e64 v9, v11, v9, s0
	s_wait_dscnt 0x0
	v_mul_f32_e32 v82, v61, v43
	v_fma_f32 v72, v72, v44, -v76
	v_fmac_f32_e32 v77, v73, v44
	v_fmac_f32_e32 v79, v69, v46
	v_lshlrev_b64_e32 v[8:9], 5, v[8:9]
	v_fmac_f32_e32 v81, v65, v40
	v_mul_f32_e32 v78, v69, v47
	v_mul_f32_e32 v83, v60, v43
	s_delay_alu instid0(VALU_DEP_4)
	v_add_co_u32 v8, s1, s2, v8
	s_wait_alu 0xf1ff
	v_add_co_ci_u32_e64 v9, s1, s3, v9, s1
	s_clause 0x1
	global_load_b128 v[12:15], v[8:9], off offset:1360
	global_load_b128 v[8:11], v[8:9], off offset:1376
	v_fma_f32 v68, v68, v46, -v78
	s_wait_loadcnt 0x3
	v_mul_f32_e32 v69, v71, v51
	s_wait_loadcnt 0x2
	v_mul_f32_e32 v76, v67, v37
	v_add_nc_u32_e32 v89, 0x800, v105
	v_add_nc_u32_e32 v90, 0x1400, v105
	v_fma_f32 v64, v64, v40, -v80
	v_mul_f32_e32 v73, v70, v51
	v_dual_mul_f32 v80, v66, v37 :: v_dual_fmac_f32 v83, v61, v42
	v_mul_f32_e32 v61, v75, v49
	v_fma_f32 v60, v60, v42, -v82
	v_mul_f32_e32 v78, v63, v39
	s_delay_alu instid0(VALU_DEP_4)
	v_fmac_f32_e32 v80, v67, v36
	v_mul_f32_e32 v82, v62, v39
	v_mul_f32_e32 v65, v74, v49
	v_fma_f32 v61, v74, v48, -v61
	v_fma_f32 v70, v70, v50, -v69
	;; [unrolled: 1-line block ×3, first 2 shown]
	v_fmac_f32_e32 v82, v63, v38
	v_dual_fmac_f32 v65, v75, v48 :: v_dual_add_f32 v92, v57, v77
	v_dual_add_f32 v62, v56, v72 :: v_dual_fmac_f32 v73, v71, v50
	v_fma_f32 v71, v66, v36, -v76
	v_sub_f32_e32 v66, v72, v68
	v_dual_add_f32 v63, v68, v64 :: v_dual_sub_f32 v76, v79, v81
	v_dual_sub_f32 v75, v77, v83 :: v_dual_sub_f32 v78, v68, v72
	v_dual_sub_f32 v67, v60, v64 :: v_dual_sub_f32 v96, v83, v81
	v_dual_add_f32 v69, v72, v60 :: v_dual_add_f32 v106, v77, v83
	v_dual_add_f32 v93, v79, v81 :: v_dual_sub_f32 v72, v72, v60
	v_dual_sub_f32 v94, v68, v64 :: v_dual_sub_f32 v95, v77, v79
	v_dual_sub_f32 v77, v79, v77 :: v_dual_add_f32 v62, v62, v68
	v_sub_f32_e32 v107, v81, v83
	v_dual_sub_f32 v91, v64, v60 :: v_dual_add_f32 v108, v66, v67
	v_fma_f32 v68, -0.5, v63, v56
	v_fma_f32 v66, -0.5, v69, v56
	v_add_f32_e32 v56, v92, v79
	v_fma_f32 v69, -0.5, v93, v57
	v_add_f32_e32 v92, v95, v96
	v_fma_f32 v67, -0.5, v106, v57
	v_add_f32_e32 v57, v58, v61
	v_dual_add_f32 v93, v77, v107 :: v_dual_add_f32 v110, v59, v65
	v_add_f32_e32 v77, v70, v71
	s_wait_loadcnt 0x0
	v_dual_sub_f32 v113, v70, v71 :: v_dual_mul_f32 v122, v55, v9
	v_dual_sub_f32 v117, v80, v82 :: v_dual_mul_f32 v120, v53, v15
	v_dual_mul_f32 v119, v6, v13 :: v_dual_mul_f32 v124, v1, v11
	v_dual_add_f32 v91, v78, v91 :: v_dual_sub_f32 v96, v73, v80
	v_dual_sub_f32 v95, v65, v82 :: v_dual_sub_f32 v114, v82, v80
	v_dual_sub_f32 v78, v61, v70 :: v_dual_sub_f32 v79, v74, v71
	v_dual_add_f32 v106, v61, v74 :: v_dual_sub_f32 v107, v70, v61
	v_sub_f32_e32 v112, v61, v74
	v_dual_sub_f32 v109, v71, v74 :: v_dual_sub_f32 v116, v73, v65
	v_dual_add_f32 v111, v73, v80 :: v_dual_mul_f32 v118, v7, v13
	v_dual_sub_f32 v61, v65, v73 :: v_dual_add_f32 v126, v62, v64
	v_dual_add_f32 v115, v65, v82 :: v_dual_fmamk_f32 v62, v75, 0x3f737871, v68
	v_mul_f32_e32 v121, v52, v15
	v_dual_mul_f32 v123, v54, v9 :: v_dual_fmac_f32 v68, 0xbf737871, v75
	v_dual_mul_f32 v125, v0, v11 :: v_dual_add_f32 v70, v57, v70
	v_fmamk_f32 v64, v76, 0xbf737871, v66
	v_dual_fmac_f32 v66, 0x3f737871, v76 :: v_dual_add_f32 v81, v56, v81
	v_add_f32_e32 v60, v126, v60
	v_fma_f32 v56, -0.5, v77, v58
	v_fmac_f32_e32 v119, v7, v12
	v_fma_f32 v7, v52, v14, -v120
	v_fma_f32 v52, v54, v8, -v122
	v_fmamk_f32 v63, v72, 0xbf737871, v69
	v_fmac_f32_e32 v69, 0x3f737871, v72
	v_fmamk_f32 v65, v94, 0x3f737871, v67
	v_fmac_f32_e32 v67, 0xbf737871, v94
	v_fma_f32 v58, -0.5, v106, v58
	v_add_f32_e32 v106, v107, v109
	v_dual_add_f32 v73, v110, v73 :: v_dual_fmac_f32 v68, 0xbf167918, v76
	v_fma_f32 v57, -0.5, v111, v59
	v_fmac_f32_e32 v59, -0.5, v115
	v_dual_add_f32 v109, v116, v117 :: v_dual_fmac_f32 v66, 0xbf167918, v75
	v_fma_f32 v6, v6, v12, -v118
	v_fmac_f32_e32 v121, v53, v14
	v_fmac_f32_e32 v123, v55, v8
	v_fma_f32 v53, v0, v10, -v124
	v_dual_fmac_f32 v125, v1, v10 :: v_dual_add_f32 v0, v70, v71
	v_dual_add_f32 v55, v7, v52 :: v_dual_fmac_f32 v66, 0x3e9e377a, v91
	v_dual_add_f32 v127, v78, v79 :: v_dual_fmac_f32 v62, 0x3f167918, v76
	;; [unrolled: 1-line block ×3, first 2 shown]
	v_dual_add_f32 v61, v81, v83 :: v_dual_fmamk_f32 v76, v95, 0x3f737871, v56
	v_fmac_f32_e32 v65, 0xbf167918, v72
	v_fmac_f32_e32 v56, 0xbf737871, v95
	v_dual_fmamk_f32 v78, v96, 0xbf737871, v58 :: v_dual_add_f32 v1, v73, v80
	v_fmac_f32_e32 v64, 0x3e9e377a, v91
	v_dual_fmamk_f32 v79, v113, 0x3f737871, v59 :: v_dual_add_f32 v70, v0, v74
	v_dual_add_f32 v54, v4, v6 :: v_dual_fmac_f32 v67, 0x3f167918, v72
	v_sub_f32_e32 v72, v6, v7
	v_dual_sub_f32 v116, v125, v123 :: v_dual_sub_f32 v75, v119, v125
	v_fmac_f32_e32 v62, 0x3e9e377a, v108
	v_add_f32_e32 v80, v6, v53
	v_fma_f32 v0, -0.5, v55, v4
	v_fmac_f32_e32 v63, 0xbf167918, v94
	v_dual_fmac_f32 v69, 0x3f167918, v94 :: v_dual_add_f32 v110, v5, v119
	v_fmac_f32_e32 v58, 0x3f737871, v96
	v_dual_fmamk_f32 v77, v112, 0xbf737871, v57 :: v_dual_sub_f32 v114, v7, v52
	v_dual_fmac_f32 v57, 0x3f737871, v112 :: v_dual_sub_f32 v118, v121, v119
	v_dual_fmac_f32 v59, 0xbf737871, v113 :: v_dual_fmac_f32 v4, -0.5, v80
	v_dual_sub_f32 v81, v121, v123 :: v_dual_fmac_f32 v68, 0x3e9e377a, v108
	v_dual_sub_f32 v73, v53, v52 :: v_dual_fmac_f32 v78, 0x3f167918, v95
	;; [unrolled: 1-line block ×3, first 2 shown]
	v_dual_add_f32 v111, v121, v123 :: v_dual_fmac_f32 v56, 0xbf167918, v96
	v_dual_sub_f32 v115, v119, v121 :: v_dual_fmac_f32 v58, 0xbf167918, v95
	s_delay_alu instid0(VALU_DEP_3) | instskip(NEXT) | instid1(VALU_DEP_3)
	v_dual_add_f32 v117, v119, v125 :: v_dual_fmac_f32 v76, 0x3e9e377a, v127
	v_dual_sub_f32 v119, v123, v125 :: v_dual_fmac_f32 v56, 0x3e9e377a, v127
	v_dual_add_f32 v71, v1, v82 :: v_dual_fmamk_f32 v82, v75, 0x3f737871, v0
	v_sub_f32_e32 v94, v52, v53
	v_dual_sub_f32 v6, v6, v53 :: v_dual_fmac_f32 v63, 0x3e9e377a, v92
	s_delay_alu instid0(VALU_DEP_3)
	v_dual_fmac_f32 v59, 0x3f167918, v112 :: v_dual_fmac_f32 v82, 0x3f167918, v81
	v_dual_add_f32 v7, v54, v7 :: v_dual_add_f32 v54, v72, v73
	v_fmamk_f32 v72, v81, 0xbf737871, v4
	v_fma_f32 v1, -0.5, v111, v5
	v_fmac_f32_e32 v5, -0.5, v117
	v_dual_add_f32 v91, v118, v119 :: v_dual_fmac_f32 v4, 0x3f737871, v81
	v_add_f32_e32 v73, v110, v121
	v_dual_add_f32 v55, v83, v94 :: v_dual_fmac_f32 v0, 0xbf737871, v75
	v_add_f32_e32 v7, v7, v52
	v_fmamk_f32 v83, v6, 0xbf737871, v1
	v_fmac_f32_e32 v1, 0x3f737871, v6
	v_fmac_f32_e32 v4, 0xbf167918, v75
	;; [unrolled: 1-line block ×3, first 2 shown]
	v_dual_fmac_f32 v77, 0xbf167918, v113 :: v_dual_add_f32 v52, v73, v123
	v_fmac_f32_e32 v82, 0x3e9e377a, v54
	v_fmamk_f32 v73, v114, 0x3f737871, v5
	v_fmac_f32_e32 v5, 0xbf737871, v114
	v_dual_fmac_f32 v65, 0x3e9e377a, v93 :: v_dual_add_f32 v74, v115, v116
	v_dual_fmac_f32 v57, 0x3f167918, v113 :: v_dual_fmac_f32 v72, 0x3f167918, v75
	v_dual_fmac_f32 v79, 0xbf167918, v112 :: v_dual_add_f32 v80, v7, v53
	v_fmac_f32_e32 v83, 0xbf167918, v114
	v_fmac_f32_e32 v1, 0x3f167918, v114
	;; [unrolled: 1-line block ×4, first 2 shown]
	v_dual_fmac_f32 v69, 0x3e9e377a, v92 :: v_dual_fmac_f32 v78, 0x3e9e377a, v106
	v_dual_fmac_f32 v67, 0x3e9e377a, v93 :: v_dual_fmac_f32 v58, 0x3e9e377a, v106
	;; [unrolled: 1-line block ×3, first 2 shown]
	v_fmac_f32_e32 v57, 0x3e9e377a, v107
	v_dual_fmac_f32 v79, 0x3e9e377a, v109 :: v_dual_fmac_f32 v72, 0x3e9e377a, v55
	v_dual_fmac_f32 v59, 0x3e9e377a, v109 :: v_dual_fmac_f32 v4, 0x3e9e377a, v55
	v_add_f32_e32 v81, v52, v125
	v_fmac_f32_e32 v83, 0x3e9e377a, v74
	v_fmac_f32_e32 v1, 0x3e9e377a, v74
	;; [unrolled: 1-line block ×4, first 2 shown]
	ds_store_2addr_b64 v87, v[62:63], v[64:65] offset0:59 offset1:246
	ds_store_2addr_b64 v88, v[66:67], v[68:69] offset0:49 offset1:236
	ds_store_2addr_b64 v104, v[60:61], v[70:71] offset1:85
	ds_store_2addr_b64 v89, v[76:77], v[78:79] offset0:16 offset1:203
	ds_store_2addr_b64 v90, v[58:59], v[56:57] offset0:6 offset1:193
	s_and_saveexec_b32 s1, s0
	s_cbranch_execz .LBB0_11
; %bb.10:
	v_add_nc_u32_e32 v6, 0x400, v104
	v_add_nc_u32_e32 v7, 0x1000, v104
	ds_store_2addr_b64 v6, v[80:81], v[82:83] offset0:42 offset1:229
	ds_store_2addr_b64 v7, v[72:73], v[4:5] offset0:32 offset1:219
	ds_store_b64 v104, v[0:1] offset:7344
.LBB0_11:
	s_wait_alu 0xfffe
	s_or_b32 exec_lo, exec_lo, s1
	global_wb scope:SCOPE_SE
	s_wait_dscnt 0x0
	s_barrier_signal -1
	s_barrier_wait -1
	global_inv scope:SCOPE_SE
	s_and_saveexec_b32 s1, vcc_lo
	s_cbranch_execz .LBB0_13
; %bb.12:
	s_add_nc_u64 s[2:3], s[8:9], 0x1d38
	s_clause 0x10
	global_load_b64 v[6:7], v97, s[8:9] offset:7480
	global_load_b64 v[74:75], v97, s[2:3] offset:440
	;; [unrolled: 1-line block ×17, first 2 shown]
	ds_load_2addr_b64 v[52:55], v104 offset1:55
	v_add_nc_u32_e32 v158, 0x400, v104
	v_add_nc_u32_e32 v159, 0x800, v104
	ds_load_2addr_b64 v[87:90], v104 offset0:110 offset1:165
	v_add_nc_u32_e32 v160, 0x1000, v104
	v_add_nc_u32_e32 v161, 0x1800, v104
	s_wait_loadcnt_dscnt 0x1001
	v_mul_f32_e32 v157, v52, v7
	s_wait_loadcnt 0xf
	v_mul_f32_e32 v162, v55, v75
	ds_load_2addr_b64 v[91:94], v158 offset0:92 offset1:147
	v_mul_f32_e32 v156, v53, v7
	ds_load_2addr_b64 v[106:109], v159 offset0:74 offset1:129
	v_mul_f32_e32 v7, v54, v75
	ds_load_b64 v[154:155], v104 offset:7040
	ds_load_2addr_b64 v[110:113], v159 offset0:184 offset1:239
	ds_load_2addr_b64 v[114:117], v160 offset0:38 offset1:93
	;; [unrolled: 1-line block ×4, first 2 shown]
	s_wait_loadcnt_dscnt 0xd07
	v_dual_mul_f32 v163, v88, v96 :: v_dual_mul_f32 v164, v90, v127
	v_dual_mul_f32 v75, v87, v96 :: v_dual_mul_f32 v96, v89, v127
	v_fma_f32 v156, v52, v6, -v156
	v_fmac_f32_e32 v157, v53, v6
	v_fma_f32 v6, v54, v74, -v162
	v_fmac_f32_e32 v7, v55, v74
	;; [unrolled: 2-line block ×3, first 2 shown]
	v_fma_f32 v95, v89, v126, -v164
	s_wait_loadcnt_dscnt 0xc06
	v_dual_fmac_f32 v96, v90, v126 :: v_dual_mul_f32 v165, v92, v129
	s_wait_loadcnt 0xb
	v_dual_mul_f32 v166, v94, v131 :: v_dual_mul_f32 v127, v91, v129
	s_wait_loadcnt_dscnt 0x905
	v_mul_f32_e32 v168, v109, v135
	v_mul_f32_e32 v129, v93, v131
	s_wait_loadcnt_dscnt 0x703
	v_dual_mul_f32 v167, v107, v133 :: v_dual_mul_f32 v170, v113, v139
	s_wait_loadcnt_dscnt 0x502
	v_dual_mul_f32 v131, v106, v133 :: v_dual_mul_f32 v172, v117, v143
	v_mul_f32_e32 v133, v108, v135
	s_wait_loadcnt_dscnt 0x301
	v_dual_mul_f32 v169, v111, v137 :: v_dual_mul_f32 v174, v121, v147
	s_wait_loadcnt_dscnt 0x100
	v_dual_mul_f32 v135, v110, v137 :: v_dual_mul_f32 v176, v125, v151
	v_mul_f32_e32 v137, v112, v139
	v_mul_f32_e32 v171, v115, v141
	;; [unrolled: 1-line block ×10, first 2 shown]
	s_wait_loadcnt 0x0
	v_mul_f32_e32 v177, v155, v153
	v_mul_f32_e32 v151, v154, v153
	v_fma_f32 v126, v91, v128, -v165
	v_fmac_f32_e32 v127, v92, v128
	v_fma_f32 v128, v93, v130, -v166
	v_fmac_f32_e32 v129, v94, v130
	;; [unrolled: 2-line block ×13, first 2 shown]
	ds_store_2addr_b64 v104, v[156:157], v[6:7] offset1:55
	ds_store_2addr_b64 v104, v[74:75], v[95:96] offset0:110 offset1:165
	ds_store_2addr_b64 v158, v[126:127], v[128:129] offset0:92 offset1:147
	;; [unrolled: 1-line block ×7, first 2 shown]
	ds_store_b64 v104, v[150:151] offset:7040
.LBB0_13:
	s_wait_alu 0xfffe
	s_or_b32 exec_lo, exec_lo, s1
	global_wb scope:SCOPE_SE
	s_wait_dscnt 0x0
	s_barrier_signal -1
	s_barrier_wait -1
	global_inv scope:SCOPE_SE
	s_and_saveexec_b32 s1, vcc_lo
	s_cbranch_execz .LBB0_15
; %bb.14:
	v_add_nc_u32_e32 v0, 0x1000, v104
	v_add_nc_u32_e32 v1, 0x800, v104
	ds_load_2addr_b64 v[60:63], v104 offset1:55
	ds_load_2addr_b64 v[72:75], v0 offset0:148 offset1:203
	ds_load_2addr_b64 v[64:67], v104 offset0:110 offset1:165
	ds_load_2addr_b64 v[54:57], v1 offset0:184 offset1:239
	v_add_nc_u32_e32 v2, 0x400, v104
	s_wait_dscnt 0x2
	v_dual_mov_b32 v4, v74 :: v_dual_add_nc_u32 v3, 0x1800, v104
	s_wait_dscnt 0x0
	v_dual_mov_b32 v5, v75 :: v_dual_mov_b32 v58, v54
	v_mov_b32_e32 v59, v55
	ds_load_b64 v[85:86], v104 offset:7040
	ds_load_2addr_b64 v[68:71], v2 offset0:92 offset1:147
	ds_load_2addr_b64 v[76:79], v1 offset0:74 offset1:129
	;; [unrolled: 1-line block ×4, first 2 shown]
.LBB0_15:
	s_wait_alu 0xfffe
	s_or_b32 exec_lo, exec_lo, s1
	s_wait_dscnt 0x4
	v_dual_sub_f32 v122, v63, v86 :: v_dual_add_f32 v125, v86, v63
	v_dual_add_f32 v106, v85, v62 :: v_dual_sub_f32 v107, v62, v85
	s_wait_dscnt 0x0
	v_add_f32_e32 v129, v1, v67
	s_delay_alu instid0(VALU_DEP_3) | instskip(SKIP_2) | instid1(VALU_DEP_3)
	v_dual_mul_f32 v93, 0xbf7ee86f, v122 :: v_dual_add_f32 v108, v2, v64
	v_dual_mul_f32 v92, 0xbe8c1d8e, v125 :: v_dual_sub_f32 v123, v65, v3
	v_dual_mul_f32 v190, 0xbf4c4adb, v122 :: v_dual_add_f32 v127, v3, v65
	v_fma_f32 v52, 0x3dbcf732, v106, -v93
	s_delay_alu instid0(VALU_DEP_3) | instskip(NEXT) | instid1(VALU_DEP_3)
	v_dual_sub_f32 v109, v64, v2 :: v_dual_mul_f32 v142, 0xbe3c28d5, v123
	v_fma_f32 v74, 0xbf1a4643, v106, -v190
	s_delay_alu instid0(VALU_DEP_3) | instskip(SKIP_1) | instid1(VALU_DEP_3)
	v_dual_mul_f32 v95, 0xbf65296c, v122 :: v_dual_add_f32 v52, v60, v52
	v_mul_f32_e32 v96, 0x3ee437d1, v125
	v_dual_fmamk_f32 v55, v107, 0xbf763a35, v92 :: v_dual_add_f32 v74, v60, v74
	v_mul_f32_e32 v94, 0x3dbcf732, v125
	v_fma_f32 v90, 0xbf7ba420, v108, -v142
	v_mul_f32_e32 v91, 0xbf763a35, v122
	v_fma_f32 v6, 0x3ee437d1, v106, -v95
	v_fmamk_f32 v7, v107, 0xbf65296c, v96
	v_add_f32_e32 v55, v61, v55
	v_dual_mul_f32 v89, 0xbf1a4643, v125 :: v_dual_mul_f32 v136, 0xbf1a4643, v127
	v_add_f32_e32 v52, v90, v52
	v_fma_f32 v54, 0xbe8c1d8e, v106, -v91
	v_dual_fmamk_f32 v53, v107, 0xbf7ee86f, v94 :: v_dual_add_f32 v6, v60, v6
	v_add_f32_e32 v7, v61, v7
	v_mul_f32_e32 v132, 0xbf4c4adb, v123
	s_delay_alu instid0(VALU_DEP_3) | instskip(SKIP_2) | instid1(VALU_DEP_4)
	v_dual_add_f32 v54, v60, v54 :: v_dual_add_f32 v53, v61, v53
	v_dual_fmamk_f32 v75, v107, 0xbf4c4adb, v89 :: v_dual_fmamk_f32 v88, v109, 0xbf4c4adb, v136
	v_dual_mul_f32 v150, 0x3f06c442, v123 :: v_dual_sub_f32 v111, v66, v0
	v_fma_f32 v87, 0xbf1a4643, v108, -v132
	v_mul_f32_e32 v144, 0xbf7ba420, v127
	v_mul_f32_e32 v187, 0xbf59a7d5, v127
	v_add_f32_e32 v7, v88, v7
	v_fma_f32 v88, 0xbf59a7d5, v108, -v150
	v_dual_add_f32 v75, v61, v75 :: v_dual_add_f32 v6, v87, v6
	v_dual_fmamk_f32 v87, v109, 0xbe3c28d5, v144 :: v_dual_sub_f32 v124, v67, v1
	v_dual_mul_f32 v90, 0xbe8c1d8e, v127 :: v_dual_mul_f32 v147, 0xbe8c1d8e, v129
	s_delay_alu instid0(VALU_DEP_4) | instskip(SKIP_1) | instid1(VALU_DEP_3)
	v_dual_mul_f32 v197, 0x3f763a35, v123 :: v_dual_add_f32 v54, v88, v54
	v_fmamk_f32 v110, v109, 0x3f06c442, v187
	v_dual_fmamk_f32 v88, v109, 0x3f763a35, v90 :: v_dual_add_f32 v53, v87, v53
	s_delay_alu instid0(VALU_DEP_3) | instskip(NEXT) | instid1(VALU_DEP_3)
	v_fma_f32 v87, 0xbe8c1d8e, v108, -v197
	v_dual_mul_f32 v146, 0x3f763a35, v124 :: v_dual_add_f32 v55, v110, v55
	v_dual_add_f32 v110, v0, v66 :: v_dual_mul_f32 v143, 0xbf7ba420, v129
	s_delay_alu instid0(VALU_DEP_3) | instskip(SKIP_2) | instid1(VALU_DEP_4)
	v_dual_mul_f32 v135, 0x3e3c28d5, v124 :: v_dual_add_f32 v74, v87, v74
	v_add_f32_e32 v75, v88, v75
	v_mul_f32_e32 v185, 0x3f2c7751, v124
	v_fmamk_f32 v88, v111, 0x3e3c28d5, v143
	s_delay_alu instid0(VALU_DEP_4) | instskip(SKIP_2) | instid1(VALU_DEP_4)
	v_fma_f32 v87, 0xbf7ba420, v110, -v135
	v_fma_f32 v112, 0xbe8c1d8e, v110, -v146
	v_mul_f32_e32 v196, 0x3f3d2fb0, v129
	v_dual_sub_f32 v126, v69, v5 :: v_dual_add_f32 v7, v88, v7
	s_delay_alu instid0(VALU_DEP_4) | instskip(SKIP_4) | instid1(VALU_DEP_4)
	v_add_f32_e32 v6, v87, v6
	v_fma_f32 v87, 0x3f3d2fb0, v110, -v185
	v_dual_fmamk_f32 v113, v111, 0x3f763a35, v147 :: v_dual_add_f32 v52, v112, v52
	v_mul_f32_e32 v204, 0xbeb8f4ab, v124
	v_sub_f32_e32 v128, v71, v73
	v_add_f32_e32 v54, v87, v54
	v_dual_fmamk_f32 v87, v111, 0x3f2c7751, v196 :: v_dual_add_f32 v112, v4, v68
	v_mul_f32_e32 v141, 0x3f763a35, v126
	v_mul_f32_e32 v195, 0xbf65296c, v126
	v_add_f32_e32 v53, v113, v53
	s_delay_alu instid0(VALU_DEP_4) | instskip(NEXT) | instid1(VALU_DEP_4)
	v_dual_mul_f32 v210, 0x3f6eb680, v129 :: v_dual_add_f32 v55, v87, v55
	v_fma_f32 v87, 0xbe8c1d8e, v112, -v141
	v_add_f32_e32 v131, v5, v69
	v_fma_f32 v115, 0x3ee437d1, v112, -v195
	v_fma_f32 v88, 0x3f6eb680, v110, -v204
	v_fmamk_f32 v113, v111, 0xbeb8f4ab, v210
	s_delay_alu instid0(VALU_DEP_4) | instskip(NEXT) | instid1(VALU_DEP_4)
	v_dual_add_f32 v6, v87, v6 :: v_dual_mul_f32 v179, 0x3f6eb680, v131
	v_add_f32_e32 v54, v115, v54
	v_mul_f32_e32 v151, 0x3eb8f4ab, v126
	v_add_f32_e32 v74, v88, v74
	v_mul_f32_e32 v148, 0xbe8c1d8e, v131
	v_mul_f32_e32 v145, 0x3f2c7751, v128
	v_dual_mul_f32 v209, 0xbf06c442, v126 :: v_dual_add_f32 v134, v73, v71
	v_fma_f32 v88, 0x3f6eb680, v112, -v151
	v_add_f32_e32 v75, v113, v75
	v_sub_f32_e32 v113, v68, v4
	v_mul_f32_e32 v215, 0xbf59a7d5, v131
	v_dual_sub_f32 v115, v70, v72 :: v_dual_mul_f32 v206, 0xbf7ba420, v134
	v_add_f32_e32 v52, v88, v52
	s_delay_alu instid0(VALU_DEP_4) | instskip(SKIP_3) | instid1(VALU_DEP_4)
	v_fmamk_f32 v114, v113, 0x3eb8f4ab, v179
	v_fmamk_f32 v87, v113, 0x3f763a35, v148
	v_mul_f32_e32 v200, 0x3ee437d1, v131
	v_dual_mul_f32 v189, 0xbf65296c, v128 :: v_dual_sub_f32 v130, v77, v83
	v_dual_add_f32 v53, v114, v53 :: v_dual_add_f32 v114, v72, v70
	s_delay_alu instid0(VALU_DEP_4) | instskip(SKIP_1) | instid1(VALU_DEP_4)
	v_dual_add_f32 v7, v87, v7 :: v_dual_mul_f32 v202, 0xbe3c28d5, v128
	v_dual_mul_f32 v192, 0x3ee437d1, v134 :: v_dual_add_f32 v139, v83, v77
	v_mul_f32_e32 v198, 0xbf06c442, v130
	s_delay_alu instid0(VALU_DEP_4) | instskip(SKIP_2) | instid1(VALU_DEP_3)
	v_fma_f32 v116, 0x3f3d2fb0, v114, -v145
	v_fmamk_f32 v87, v113, 0xbf65296c, v200
	v_dual_sub_f32 v117, v76, v82 :: v_dual_mul_f32 v214, 0x3f7ee86f, v128
	v_dual_mul_f32 v213, 0x3dbcf732, v139 :: v_dual_add_f32 v6, v116, v6
	s_delay_alu instid0(VALU_DEP_3)
	v_add_f32_e32 v55, v87, v55
	v_fma_f32 v87, 0xbf59a7d5, v112, -v209
	v_mul_f32_e32 v199, 0xbf59a7d5, v139
	global_wb scope:SCOPE_SE
	s_barrier_signal -1
	s_barrier_wait -1
	v_add_f32_e32 v74, v87, v74
	v_fmamk_f32 v88, v113, 0xbf06c442, v215
	global_inv scope:SCOPE_SE
	v_add_f32_e32 v140, v57, v59
	v_add_f32_e32 v75, v88, v75
	v_fma_f32 v88, 0x3ee437d1, v114, -v189
	v_mul_f32_e32 v153, 0x3f3d2fb0, v134
	v_fmamk_f32 v116, v115, 0xbe3c28d5, v206
	v_mul_f32_e32 v201, 0xbf59a7d5, v140
	v_mul_f32_e32 v225, 0x3ee437d1, v140
	s_delay_alu instid0(VALU_DEP_4) | instskip(NEXT) | instid1(VALU_DEP_4)
	v_dual_add_f32 v52, v88, v52 :: v_dual_fmamk_f32 v87, v115, 0x3f2c7751, v153
	v_dual_add_f32 v55, v116, v55 :: v_dual_add_f32 v116, v82, v76
	v_fma_f32 v88, 0xbf7ba420, v114, -v202
	s_delay_alu instid0(VALU_DEP_3) | instskip(SKIP_1) | instid1(VALU_DEP_4)
	v_dual_mul_f32 v212, 0x3f3d2fb0, v140 :: v_dual_add_f32 v7, v87, v7
	v_mul_f32_e32 v220, 0xbf1a4643, v140
	v_fma_f32 v118, 0xbf59a7d5, v116, -v198
	s_delay_alu instid0(VALU_DEP_4) | instskip(NEXT) | instid1(VALU_DEP_2)
	v_dual_fmamk_f32 v87, v115, 0xbf65296c, v192 :: v_dual_add_f32 v54, v88, v54
	v_dual_fmamk_f32 v119, v117, 0xbf06c442, v199 :: v_dual_add_f32 v52, v118, v52
	s_delay_alu instid0(VALU_DEP_2) | instskip(SKIP_3) | instid1(VALU_DEP_4)
	v_dual_mul_f32 v218, 0x3dbcf732, v134 :: v_dual_add_f32 v53, v87, v53
	v_fma_f32 v87, 0x3dbcf732, v114, -v214
	v_mul_f32_e32 v188, 0x3f6eb680, v139
	v_add_f32_e32 v118, v80, v78
	v_fmamk_f32 v88, v115, 0x3f7ee86f, v218
	v_add_f32_e32 v53, v119, v53
	v_mul_f32_e32 v155, 0xbeb8f4ab, v130
	s_delay_alu instid0(VALU_DEP_3) | instskip(SKIP_1) | instid1(VALU_DEP_3)
	v_dual_add_f32 v74, v87, v74 :: v_dual_add_f32 v75, v88, v75
	v_fmamk_f32 v88, v117, 0xbeb8f4ab, v188
	v_fma_f32 v87, 0x3f6eb680, v116, -v155
	s_delay_alu instid0(VALU_DEP_1) | instskip(NEXT) | instid1(VALU_DEP_1)
	v_dual_add_f32 v6, v87, v6 :: v_dual_mul_f32 v223, 0x3f3d2fb0, v139
	v_fmamk_f32 v119, v117, 0xbf2c7751, v223
	s_delay_alu instid0(VALU_DEP_1) | instskip(SKIP_2) | instid1(VALU_DEP_1)
	v_add_f32_e32 v75, v119, v75
	v_sub_f32_e32 v119, v78, v80
	v_add_f32_e32 v137, v81, v79
	v_mul_f32_e32 v205, 0xbf1a4643, v137
	s_delay_alu instid0(VALU_DEP_1) | instskip(SKIP_3) | instid1(VALU_DEP_3)
	v_fmamk_f32 v120, v119, 0x3f4c4adb, v205
	v_dual_mul_f32 v216, 0x3f6eb680, v137 :: v_dual_add_f32 v7, v88, v7
	v_mul_f32_e32 v194, 0x3dbcf732, v137
	v_mul_f32_e32 v224, 0xbf7ba420, v137
	v_dual_add_f32 v53, v120, v53 :: v_dual_fmamk_f32 v138, v119, 0xbeb8f4ab, v216
	v_mul_f32_e32 v219, 0xbf2c7751, v130
	v_add_f32_e32 v120, v56, v58
	s_delay_alu instid0(VALU_DEP_2) | instskip(NEXT) | instid1(VALU_DEP_1)
	v_fma_f32 v88, 0x3f3d2fb0, v116, -v219
	v_dual_sub_f32 v133, v79, v81 :: v_dual_add_f32 v74, v88, v74
	s_delay_alu instid0(VALU_DEP_1) | instskip(SKIP_1) | instid1(VALU_DEP_2)
	v_mul_f32_e32 v203, 0x3f4c4adb, v133
	v_mul_f32_e32 v191, 0xbf7ee86f, v133
	v_fma_f32 v88, 0xbf1a4643, v118, -v203
	s_delay_alu instid0(VALU_DEP_1) | instskip(NEXT) | instid1(VALU_DEP_1)
	v_dual_mul_f32 v207, 0x3f7ee86f, v130 :: v_dual_add_f32 v52, v88, v52
	v_fma_f32 v87, 0x3dbcf732, v116, -v207
	s_delay_alu instid0(VALU_DEP_1) | instskip(NEXT) | instid1(VALU_DEP_1)
	v_dual_add_f32 v54, v87, v54 :: v_dual_fmamk_f32 v87, v117, 0x3f7ee86f, v213
	v_add_f32_e32 v55, v87, v55
	v_fma_f32 v87, 0x3dbcf732, v118, -v191
	s_delay_alu instid0(VALU_DEP_2) | instskip(SKIP_1) | instid1(VALU_DEP_3)
	v_add_f32_e32 v88, v138, v55
	v_sub_f32_e32 v138, v59, v57
	v_add_f32_e32 v6, v87, v6
	s_delay_alu instid0(VALU_DEP_2)
	v_mul_f32_e32 v193, 0xbf06c442, v138
	v_mul_f32_e32 v208, 0x3f2c7751, v138
	v_fmamk_f32 v87, v119, 0xbf7ee86f, v194
	v_fmamk_f32 v55, v119, 0xbe3c28d5, v224
	v_mul_f32_e32 v217, 0xbf4c4adb, v138
	v_fma_f32 v149, 0xbf59a7d5, v120, -v193
	v_mul_f32_e32 v211, 0xbeb8f4ab, v133
	v_dual_add_f32 v7, v87, v7 :: v_dual_mul_f32 v222, 0x3f65296c, v138
	v_add_f32_e32 v156, v55, v75
	s_delay_alu instid0(VALU_DEP_3) | instskip(NEXT) | instid1(VALU_DEP_1)
	v_fma_f32 v121, 0x3f6eb680, v118, -v211
	v_add_f32_e32 v87, v121, v54
	v_sub_f32_e32 v121, v58, v56
	s_delay_alu instid0(VALU_DEP_1) | instskip(SKIP_1) | instid1(VALU_DEP_2)
	v_fmamk_f32 v152, v121, 0xbf06c442, v201
	v_fmamk_f32 v157, v121, 0x3f65296c, v225
	v_add_f32_e32 v75, v152, v7
	v_fma_f32 v7, 0xbf1a4643, v120, -v217
	v_mul_f32_e32 v221, 0xbe3c28d5, v133
	v_fma_f32 v152, 0x3ee437d1, v120, -v222
	s_delay_alu instid0(VALU_DEP_2) | instskip(NEXT) | instid1(VALU_DEP_1)
	v_fma_f32 v54, 0xbf7ba420, v118, -v221
	v_add_f32_e32 v154, v54, v74
	v_fma_f32 v54, 0x3f3d2fb0, v120, -v208
	v_add_f32_e32 v74, v149, v6
	v_fmamk_f32 v6, v121, 0x3f2c7751, v212
	s_delay_alu instid0(VALU_DEP_3) | instskip(NEXT) | instid1(VALU_DEP_2)
	v_dual_fmamk_f32 v149, v121, 0xbf4c4adb, v220 :: v_dual_add_f32 v54, v54, v52
	v_dual_add_f32 v52, v7, v87 :: v_dual_add_f32 v55, v6, v53
	s_delay_alu instid0(VALU_DEP_2)
	v_dual_add_f32 v53, v149, v88 :: v_dual_add_f32 v6, v152, v154
	v_add_f32_e32 v7, v157, v156
	s_and_saveexec_b32 s1, vcc_lo
	s_cbranch_execz .LBB0_17
; %bb.16:
	v_mul_f32_e32 v184, 0xbf06c442, v122
	v_mul_f32_e32 v186, 0x3f65296c, v123
	v_dual_mul_f32 v236, 0xbe3c28d5, v109 :: v_dual_mul_f32 v167, 0xbe3c28d5, v122
	v_mul_f32_e32 v166, 0x3ee437d1, v139
	s_delay_alu instid0(VALU_DEP_4)
	v_fmamk_f32 v162, v106, 0xbf59a7d5, v184
	v_mul_f32_e32 v249, 0x3f763a35, v113
	v_fmamk_f32 v173, v108, 0x3ee437d1, v186
	v_mul_f32_e32 v171, 0xbf7ee86f, v124
	v_fmamk_f32 v152, v106, 0xbf7ba420, v167
	v_add_f32_e32 v172, v60, v162
	v_mul_f32_e32 v164, 0x3f3d2fb0, v131
	v_mul_f32_e32 v227, 0xbf65296c, v107
	v_fmamk_f32 v182, v110, 0x3dbcf732, v171
	v_add_f32_e32 v152, v60, v152
	v_add_f32_e32 v173, v173, v172
	v_mul_f32_e32 v169, 0x3eb8f4ab, v123
	v_mul_f32_e32 v170, 0xbf06c442, v124
	;; [unrolled: 1-line block ×3, first 2 shown]
	s_delay_alu instid0(VALU_DEP_4) | instskip(NEXT) | instid1(VALU_DEP_4)
	v_dual_mul_f32 v175, 0x3f2c7751, v126 :: v_dual_add_f32 v182, v182, v173
	v_fmamk_f32 v154, v108, 0x3f6eb680, v169
	v_mul_f32_e32 v229, 0xbf7ee86f, v107
	v_dual_mul_f32 v176, 0xbf4c4adb, v107 :: v_dual_mul_f32 v177, 0xbf4c4adb, v128
	s_delay_alu instid0(VALU_DEP_3) | instskip(SKIP_2) | instid1(VALU_DEP_4)
	v_dual_mul_f32 v165, 0xbf1a4643, v134 :: v_dual_add_f32 v152, v154, v152
	v_fmamk_f32 v154, v110, 0xbf59a7d5, v170
	v_mul_f32_e32 v231, 0xbf763a35, v107
	v_dual_mul_f32 v156, 0xbe8c1d8e, v137 :: v_dual_sub_f32 v89, v89, v176
	v_mul_f32_e32 v178, 0x3f65296c, v130
	s_delay_alu instid0(VALU_DEP_4) | instskip(SKIP_4) | instid1(VALU_DEP_4)
	v_add_f32_e32 v152, v154, v152
	v_fmamk_f32 v154, v112, 0x3f3d2fb0, v175
	v_mul_f32_e32 v183, 0x3f763a35, v109
	v_mul_f32_e32 v158, 0xbf7ba420, v125
	;; [unrolled: 1-line block ×3, first 2 shown]
	v_dual_add_f32 v89, v61, v89 :: v_dual_add_f32 v152, v154, v152
	v_fmamk_f32 v154, v114, 0xbf1a4643, v177
	v_mul_f32_e32 v241, 0x3e3c28d5, v111
	v_dual_mul_f32 v246, 0x3f6eb680, v110 :: v_dual_mul_f32 v149, 0x3f6eb680, v127
	v_fmamk_f32 v160, v118, 0xbe8c1d8e, v168
	s_delay_alu instid0(VALU_DEP_4) | instskip(SKIP_4) | instid1(VALU_DEP_4)
	v_add_f32_e32 v152, v154, v152
	v_fmamk_f32 v154, v116, 0x3ee437d1, v178
	v_mul_f32_e32 v245, 0x3f2c7751, v111
	v_dual_sub_f32 v90, v90, v183 :: v_dual_mul_f32 v183, 0xbe8c1d8e, v140
	v_dual_mul_f32 v247, 0xbeb8f4ab, v111 :: v_dual_fmamk_f32 v88, v109, 0xbeb8f4ab, v149
	v_dual_add_f32 v154, v154, v152 :: v_dual_fmamk_f32 v87, v107, 0x3e3c28d5, v158
	v_mul_f32_e32 v159, 0xbf59a7d5, v129
	v_mul_f32_e32 v157, 0x3dbcf732, v140
	;; [unrolled: 1-line block ×3, first 2 shown]
	s_delay_alu instid0(VALU_DEP_4) | instskip(SKIP_4) | instid1(VALU_DEP_4)
	v_add_f32_e32 v174, v160, v154
	v_dual_mul_f32 v226, 0x3ee437d1, v106 :: v_dual_add_f32 v87, v61, v87
	v_mul_f32_e32 v160, 0x3dbcf732, v129
	v_mul_f32_e32 v154, 0x3f7ee86f, v138
	;; [unrolled: 1-line block ×3, first 2 shown]
	v_dual_mul_f32 v172, 0x3f4c4adb, v126 :: v_dual_add_f32 v87, v88, v87
	s_delay_alu instid0(VALU_DEP_4) | instskip(NEXT) | instid1(VALU_DEP_4)
	v_fmamk_f32 v163, v111, 0x3f7ee86f, v160
	v_fmamk_f32 v181, v120, 0x3dbcf732, v154
	;; [unrolled: 1-line block ×3, first 2 shown]
	v_mul_f32_e32 v234, 0xbf4c4adb, v109
	v_fmamk_f32 v251, v115, 0x3eb8f4ab, v162
	v_fmamk_f32 v252, v112, 0xbf1a4643, v172
	v_sub_f32_e32 v196, v196, v245
	v_dual_add_f32 v87, v88, v87 :: v_dual_fmamk_f32 v88, v113, 0xbf2c7751, v164
	v_mul_f32_e32 v238, 0x3f06c442, v109
	v_mul_f32_e32 v245, 0xbf1a4643, v118
	;; [unrolled: 1-line block ×3, first 2 shown]
	v_add_f32_e32 v89, v90, v89
	v_dual_add_f32 v87, v88, v87 :: v_dual_fmamk_f32 v88, v115, 0x3f4c4adb, v165
	v_mul_f32_e32 v242, 0xbe8c1d8e, v110
	v_dual_mul_f32 v230, 0xbe8c1d8e, v106 :: v_dual_mul_f32 v239, 0xbe8c1d8e, v108
	s_delay_alu instid0(VALU_DEP_3) | instskip(SKIP_2) | instid1(VALU_DEP_4)
	v_dual_mul_f32 v180, 0xbf59a7d5, v125 :: v_dual_add_f32 v87, v88, v87
	v_fmamk_f32 v88, v117, 0xbf65296c, v166
	v_mul_f32_e32 v152, 0x3ee437d1, v127
	v_dual_sub_f32 v90, v210, v247 :: v_dual_add_f32 v197, v239, v197
	v_sub_f32_e32 v92, v92, v231
	s_delay_alu instid0(VALU_DEP_4) | instskip(SKIP_2) | instid1(VALU_DEP_3)
	v_dual_add_f32 v87, v88, v87 :: v_dual_fmamk_f32 v88, v119, 0x3f763a35, v156
	v_mul_f32_e32 v244, 0x3f3d2fb0, v110
	v_dual_add_f32 v150, v237, v150 :: v_dual_sub_f32 v147, v147, v243
	v_dual_mul_f32 v210, 0xbf06c442, v113 :: v_dual_add_f32 v87, v88, v87
	v_fmamk_f32 v88, v121, 0xbf7ee86f, v157
	v_mul_f32_e32 v173, 0xbeb8f4ab, v128
	v_sub_f32_e32 v187, v187, v238
	s_delay_alu instid0(VALU_DEP_4) | instskip(NEXT) | instid1(VALU_DEP_4)
	v_dual_sub_f32 v210, v215, v210 :: v_dual_mul_f32 v215, 0x3ee437d1, v112
	v_dual_add_f32 v88, v88, v87 :: v_dual_fmamk_f32 v87, v107, 0x3f06c442, v180
	v_mul_f32_e32 v248, 0xbe8c1d8e, v112
	v_fmamk_f32 v161, v109, 0xbf65296c, v152
	v_add_f32_e32 v92, v61, v92
	v_dual_mul_f32 v232, 0xbf1a4643, v106 :: v_dual_mul_f32 v233, 0xbf1a4643, v108
	v_add_f32_e32 v87, v61, v87
	v_dual_mul_f32 v255, 0x3eb8f4ab, v113 :: v_dual_add_f32 v204, v246, v204
	s_delay_alu instid0(VALU_DEP_4) | instskip(NEXT) | instid1(VALU_DEP_3)
	v_dual_add_f32 v92, v187, v92 :: v_dual_mul_f32 v187, 0xbf7ba420, v118
	v_add_f32_e32 v87, v161, v87
	v_dual_mul_f32 v161, 0xbf1a4643, v131 :: v_dual_add_f32 v190, v232, v190
	v_add_f32_e32 v91, v230, v91
	s_delay_alu instid0(VALU_DEP_4) | instskip(NEXT) | instid1(VALU_DEP_4)
	v_add_f32_e32 v187, v187, v221
	v_add_f32_e32 v87, v163, v87
	s_delay_alu instid0(VALU_DEP_4) | instskip(SKIP_3) | instid1(VALU_DEP_3)
	v_fmamk_f32 v163, v113, 0xbf4c4adb, v161
	v_dual_mul_f32 v237, 0x3f3d2fb0, v120 :: v_dual_add_f32 v190, v60, v190
	v_add_f32_e32 v91, v60, v91
	v_dual_mul_f32 v235, 0xbf7ba420, v108 :: v_dual_mul_f32 v240, 0xbf7ba420, v110
	v_dual_add_f32 v87, v163, v87 :: v_dual_add_f32 v190, v197, v190
	v_mul_f32_e32 v197, 0xbe3c28d5, v119
	v_mul_f32_e32 v250, 0x3f6eb680, v112
	s_delay_alu instid0(VALU_DEP_4) | instskip(NEXT) | instid1(VALU_DEP_4)
	v_dual_add_f32 v142, v235, v142 :: v_dual_add_f32 v135, v240, v135
	v_add_f32_e32 v251, v251, v87
	v_add_f32_e32 v87, v181, v174
	v_dual_add_f32 v181, v252, v182 :: v_dual_fmamk_f32 v252, v114, 0x3f6eb680, v173
	v_mul_f32_e32 v174, 0xbe3c28d5, v130
	v_mul_f32_e32 v163, 0xbf7ba420, v139
	;; [unrolled: 1-line block ×3, first 2 shown]
	v_add_f32_e32 v190, v204, v190
	v_add_f32_e32 v176, v252, v181
	v_fmamk_f32 v252, v116, 0xbf7ba420, v174
	v_mul_f32_e32 v181, 0x3f2c7751, v133
	v_fmamk_f32 v253, v117, 0x3e3c28d5, v163
	v_mul_f32_e32 v204, 0x3f65296c, v121
	v_sub_f32_e32 v197, v224, v197
	v_add_f32_e32 v252, v252, v176
	s_delay_alu instid0(VALU_DEP_4) | instskip(SKIP_3) | instid1(VALU_DEP_4)
	v_dual_fmamk_f32 v254, v118, 0x3f3d2fb0, v181 :: v_dual_add_f32 v251, v253, v251
	v_fmamk_f32 v253, v119, 0xbf2c7751, v182
	v_mul_f32_e32 v176, 0xbf763a35, v138
	v_mul_f32_e32 v224, 0x3dbcf732, v114
	v_add_f32_e32 v252, v254, v252
	s_delay_alu instid0(VALU_DEP_4) | instskip(NEXT) | instid1(VALU_DEP_4)
	v_dual_add_f32 v254, v90, v89 :: v_dual_add_f32 v247, v253, v251
	v_dual_fmamk_f32 v253, v120, 0xbe8c1d8e, v176 :: v_dual_sub_f32 v204, v225, v204
	s_delay_alu instid0(VALU_DEP_2) | instskip(SKIP_1) | instid1(VALU_DEP_3)
	v_dual_add_f32 v185, v244, v185 :: v_dual_add_f32 v210, v210, v254
	v_fmamk_f32 v251, v121, 0x3f763a35, v183
	v_add_f32_e32 v89, v253, v252
	v_mul_f32_e32 v252, 0xbf59a7d5, v112
	v_dual_add_f32 v214, v224, v214 :: v_dual_mul_f32 v253, 0x3f2c7751, v121
	s_delay_alu instid0(VALU_DEP_4) | instskip(SKIP_1) | instid1(VALU_DEP_4)
	v_add_f32_e32 v90, v251, v247
	v_mul_f32_e32 v251, 0x3f7ee86f, v115
	v_add_f32_e32 v209, v252, v209
	v_mul_f32_e32 v239, 0x3f2c7751, v115
	v_add_f32_e32 v93, v228, v93
	v_add_f32_e32 v91, v150, v91
	v_sub_f32_e32 v218, v218, v251
	v_dual_add_f32 v190, v209, v190 :: v_dual_mul_f32 v251, 0xbf2c7751, v117
	s_delay_alu instid0(VALU_DEP_4) | instskip(NEXT) | instid1(VALU_DEP_3)
	v_dual_add_f32 v93, v60, v93 :: v_dual_add_f32 v146, v242, v146
	v_add_f32_e32 v210, v218, v210
	s_delay_alu instid0(VALU_DEP_3) | instskip(SKIP_1) | instid1(VALU_DEP_4)
	v_dual_add_f32 v190, v214, v190 :: v_dual_sub_f32 v223, v223, v251
	v_mul_f32_e32 v247, 0xbf65296c, v113
	v_dual_mul_f32 v251, 0xbf65296c, v115 :: v_dual_add_f32 v142, v142, v93
	v_dual_mul_f32 v218, 0x3ee437d1, v114 :: v_dual_add_f32 v185, v185, v91
	s_delay_alu instid0(VALU_DEP_4) | instskip(SKIP_2) | instid1(VALU_DEP_3)
	v_dual_add_f32 v210, v223, v210 :: v_dual_mul_f32 v223, 0xbe3c28d5, v115
	v_dual_mul_f32 v246, 0xbf7ba420, v114 :: v_dual_add_f32 v195, v215, v195
	v_dual_mul_f32 v252, 0x3f6eb680, v116 :: v_dual_mul_f32 v221, 0x3f6eb680, v118
	v_dual_sub_f32 v206, v206, v223 :: v_dual_mul_f32 v223, 0xbf1a4643, v120
	v_dual_mul_f32 v209, 0xbf06c442, v117 :: v_dual_add_f32 v92, v196, v92
	v_mul_f32_e32 v196, 0xbeb8f4ab, v119
	v_dual_mul_f32 v224, 0x3f3d2fb0, v116 :: v_dual_add_f32 v185, v195, v185
	v_sub_f32_e32 v96, v96, v227
	v_add_f32_e32 v142, v146, v142
	v_add_f32_e32 v146, v250, v151
	s_delay_alu instid0(VALU_DEP_4)
	v_add_f32_e32 v219, v224, v219
	v_mul_f32_e32 v225, 0xbf59a7d5, v116
	v_add_f32_e32 v96, v61, v96
	v_sub_f32_e32 v136, v136, v234
	v_add_f32_e32 v142, v146, v142
	v_add_f32_e32 v146, v218, v189
	;; [unrolled: 1-line block ×3, first 2 shown]
	v_sub_f32_e32 v196, v216, v196
	v_add_f32_e32 v96, v136, v96
	v_sub_f32_e32 v136, v143, v241
	v_add_f32_e32 v142, v146, v142
	v_dual_add_f32 v143, v225, v198 :: v_dual_sub_f32 v94, v94, v229
	v_sub_f32_e32 v200, v200, v247
	v_mul_f32_e32 v150, 0xbf4c4adb, v121
	v_mul_f32_e32 v244, 0x3ee437d1, v120
	s_delay_alu instid0(VALU_DEP_4) | instskip(SKIP_2) | instid1(VALU_DEP_3)
	v_dual_add_f32 v142, v143, v142 :: v_dual_add_f32 v143, v245, v203
	v_dual_mul_f32 v224, 0xbf7ee86f, v119 :: v_dual_add_f32 v195, v61, v94
	v_dual_add_f32 v197, v197, v210 :: v_dual_mul_f32 v238, 0x3f7ee86f, v117
	v_add_f32_e32 v142, v143, v142
	v_dual_sub_f32 v144, v144, v236 :: v_dual_mul_f32 v219, 0x3f4c4adb, v119
	v_add_f32_e32 v187, v187, v190
	v_mul_f32_e32 v231, 0x3dbcf732, v116
	v_mul_f32_e32 v230, 0xbf59a7d5, v120
	s_delay_alu instid0(VALU_DEP_4) | instskip(SKIP_2) | instid1(VALU_DEP_3)
	v_add_f32_e32 v144, v144, v195
	v_dual_add_f32 v95, v226, v95 :: v_dual_add_f32 v132, v233, v132
	v_dual_add_f32 v143, v237, v208 :: v_dual_sub_f32 v146, v212, v253
	v_add_f32_e32 v144, v147, v144
	v_sub_f32_e32 v147, v179, v255
	v_dual_add_f32 v179, v223, v217 :: v_dual_add_f32 v200, v200, v92
	v_mul_f32_e32 v232, 0x3f3d2fb0, v114
	v_add_f32_e32 v92, v204, v197
	s_delay_alu instid0(VALU_DEP_4) | instskip(SKIP_3) | instid1(VALU_DEP_3)
	v_dual_add_f32 v144, v147, v144 :: v_dual_sub_f32 v147, v192, v251
	v_add_f32_e32 v190, v244, v222
	v_dual_mul_f32 v210, 0xbeb8f4ab, v117 :: v_dual_add_f32 v197, v206, v200
	v_sub_f32_e32 v150, v220, v150
	v_dual_add_f32 v144, v147, v144 :: v_dual_add_f32 v91, v190, v187
	v_add_f32_e32 v187, v246, v202
	v_dual_sub_f32 v200, v213, v238 :: v_dual_sub_f32 v147, v199, v209
	v_dual_mul_f32 v214, 0x3dbcf732, v118 :: v_dual_add_f32 v95, v60, v95
	s_delay_alu instid0(VALU_DEP_3) | instskip(NEXT) | instid1(VALU_DEP_3)
	v_add_f32_e32 v185, v187, v185
	v_add_f32_e32 v197, v200, v197
	;; [unrolled: 1-line block ×5, first 2 shown]
	s_delay_alu instid0(VALU_DEP_4) | instskip(SKIP_1) | instid1(VALU_DEP_3)
	v_dual_sub_f32 v147, v205, v219 :: v_dual_add_f32 v190, v196, v197
	v_dual_add_f32 v136, v136, v96 :: v_dual_add_f32 v95, v143, v142
	v_dual_add_f32 v132, v135, v132 :: v_dual_add_f32 v135, v248, v141
	s_delay_alu instid0(VALU_DEP_3) | instskip(SKIP_2) | instid1(VALU_DEP_4)
	v_add_f32_e32 v94, v150, v190
	v_dual_add_f32 v150, v187, v185 :: v_dual_add_f32 v185, v221, v211
	v_dual_add_f32 v144, v147, v144 :: v_dual_sub_f32 v147, v148, v249
	v_dual_add_f32 v132, v135, v132 :: v_dual_add_f32 v135, v232, v145
	s_delay_alu instid0(VALU_DEP_3) | instskip(NEXT) | instid1(VALU_DEP_3)
	v_dual_add_f32 v150, v185, v150 :: v_dual_mul_f32 v187, 0xbf4c4adb, v124
	v_dual_add_f32 v136, v147, v136 :: v_dual_mul_f32 v143, 0x3dbcf732, v127
	s_delay_alu instid0(VALU_DEP_3)
	v_dual_add_f32 v132, v135, v132 :: v_dual_add_f32 v135, v252, v155
	v_add_f32_e32 v155, v230, v193
	v_add_f32_e32 v96, v146, v144
	v_sub_f32_e32 v144, v153, v239
	v_dual_sub_f32 v146, v188, v210 :: v_dual_mul_f32 v127, 0x3f3d2fb0, v127
	v_sub_f32_e32 v147, v194, v224
	v_mul_f32_e32 v188, 0x3f06c442, v128
	s_delay_alu instid0(VALU_DEP_4) | instskip(SKIP_2) | instid1(VALU_DEP_3)
	v_dual_add_f32 v136, v144, v136 :: v_dual_add_f32 v63, v63, v61
	v_mul_f32_e32 v247, 0xbf06c442, v121
	v_mul_f32_e32 v145, 0xbf7ba420, v131
	v_dual_fmamk_f32 v189, v109, 0x3f2c7751, v127 :: v_dual_add_f32 v136, v146, v136
	v_mul_f32_e32 v146, 0xbf1a4643, v129
	s_delay_alu instid0(VALU_DEP_4) | instskip(SKIP_1) | instid1(VALU_DEP_4)
	v_dual_mul_f32 v129, 0x3ee437d1, v129 :: v_dual_sub_f32 v148, v201, v247
	v_add_f32_e32 v93, v179, v150
	v_dual_add_f32 v136, v147, v136 :: v_dual_mul_f32 v147, 0xbf59a7d5, v134
	v_mul_f32_e32 v134, 0xbe8c1d8e, v134
	v_mul_f32_e32 v190, 0x3f763a35, v130
	v_dual_add_f32 v132, v135, v132 :: v_dual_add_f32 v135, v214, v191
	v_mul_f32_e32 v191, 0x3dbcf732, v131
	v_mul_f32_e32 v150, 0xbe8c1d8e, v139
	v_add_f32_e32 v136, v148, v136
	v_mul_f32_e32 v148, 0xbf2c7751, v122
	v_add_f32_e32 v132, v135, v132
	v_mul_f32_e32 v144, 0x3f3d2fb0, v125
	v_mul_f32_e32 v153, 0xbf7ee86f, v123
	;; [unrolled: 1-line block ×3, first 2 shown]
	v_fmamk_f32 v151, v106, 0x3f3d2fb0, v148
	v_mul_f32_e32 v139, 0xbf1a4643, v139
	v_fmamk_f32 v142, v107, 0x3f2c7751, v144
	v_fmamk_f32 v185, v108, 0x3dbcf732, v153
	v_add_f32_e32 v63, v65, v63
	v_dual_add_f32 v151, v60, v151 :: v_dual_mul_f32 v122, 0xbeb8f4ab, v122
	s_delay_alu instid0(VALU_DEP_4) | instskip(SKIP_4) | instid1(VALU_DEP_4)
	v_add_f32_e32 v141, v61, v142
	v_fmamk_f32 v142, v109, 0x3f7ee86f, v143
	v_fmac_f32_e32 v164, 0x3f2c7751, v113
	v_fmac_f32_e32 v156, 0xbf763a35, v119
	;; [unrolled: 1-line block ×3, first 2 shown]
	v_dual_fmac_f32 v182, 0x3f2c7751, v119 :: v_dual_add_f32 v141, v142, v141
	v_fmamk_f32 v142, v111, 0x3f4c4adb, v146
	v_dual_add_f32 v62, v62, v60 :: v_dual_fmac_f32 v149, 0x3eb8f4ab, v109
	v_fmac_f32_e32 v159, 0xbf06c442, v111
	v_fmac_f32_e32 v165, 0xbf4c4adb, v115
	s_delay_alu instid0(VALU_DEP_4) | instskip(NEXT) | instid1(VALU_DEP_4)
	v_dual_add_f32 v141, v142, v141 :: v_dual_fmamk_f32 v142, v113, 0x3e3c28d5, v145
	v_dual_add_f32 v62, v64, v62 :: v_dual_mul_f32 v65, 0xbf59a7d5, v137
	v_dual_mul_f32 v64, 0xbf65296c, v124 :: v_dual_add_f32 v63, v67, v63
	s_delay_alu instid0(VALU_DEP_3) | instskip(NEXT) | instid1(VALU_DEP_3)
	v_dual_add_f32 v141, v142, v141 :: v_dual_fmamk_f32 v142, v115, 0xbf06c442, v147
	v_add_f32_e32 v62, v66, v62
	s_delay_alu instid0(VALU_DEP_3) | instskip(SKIP_1) | instid1(VALU_DEP_4)
	v_dual_fmamk_f32 v66, v110, 0x3ee437d1, v64 :: v_dual_add_f32 v63, v69, v63
	v_fmac_f32_e32 v157, 0x3f7ee86f, v121
	v_add_f32_e32 v135, v142, v141
	v_fmamk_f32 v141, v117, 0xbf763a35, v150
	v_mul_f32_e32 v142, 0x3ee437d1, v137
	v_dual_add_f32 v62, v68, v62 :: v_dual_fmamk_f32 v67, v119, 0x3f06c442, v65
	s_delay_alu instid0(VALU_DEP_3) | instskip(NEXT) | instid1(VALU_DEP_3)
	v_dual_fmac_f32 v166, 0x3f65296c, v117 :: v_dual_add_f32 v141, v141, v135
	v_fmamk_f32 v179, v119, 0xbf65296c, v142
	v_add_f32_e32 v135, v155, v132
	v_mul_f32_e32 v155, 0xbe3c28d5, v126
	v_add_f32_e32 v62, v70, v62
	v_mul_f32_e32 v70, 0xbf7ba420, v140
	v_dual_add_f32 v132, v179, v141 :: v_dual_add_f32 v141, v185, v151
	v_fmamk_f32 v185, v107, 0x3eb8f4ab, v125
	v_fmamk_f32 v151, v110, 0xbf1a4643, v187
	v_mul_f32_e32 v179, 0x3f6eb680, v140
	v_add_f32_e32 v63, v71, v63
	v_dual_mul_f32 v71, 0xbf763a35, v128 :: v_dual_add_f32 v62, v76, v62
	v_add_f32_e32 v185, v61, v185
	v_add_f32_e32 v141, v151, v141
	v_fmamk_f32 v151, v112, 0xbf7ba420, v155
	s_delay_alu instid0(VALU_DEP_4) | instskip(NEXT) | instid1(VALU_DEP_4)
	v_dual_fmamk_f32 v193, v121, 0xbeb8f4ab, v179 :: v_dual_add_f32 v62, v78, v62
	v_add_f32_e32 v185, v189, v185
	v_fmamk_f32 v189, v111, 0x3f65296c, v129
	s_delay_alu instid0(VALU_DEP_3) | instskip(NEXT) | instid1(VALU_DEP_4)
	v_dual_add_f32 v141, v151, v141 :: v_dual_add_f32 v132, v193, v132
	v_add_f32_e32 v58, v58, v62
	s_delay_alu instid0(VALU_DEP_3) | instskip(SKIP_2) | instid1(VALU_DEP_4)
	v_dual_mul_f32 v76, 0xbf4c4adb, v130 :: v_dual_add_f32 v185, v189, v185
	v_fmamk_f32 v189, v113, 0x3f7ee86f, v191
	v_fmac_f32_e32 v144, 0xbf2c7751, v107
	v_add_f32_e32 v56, v56, v58
	v_mul_f32_e32 v69, 0xbf7ee86f, v126
	v_fmac_f32_e32 v179, 0x3eb8f4ab, v121
	v_add_f32_e32 v185, v189, v185
	s_delay_alu instid0(VALU_DEP_4) | instskip(NEXT) | instid1(VALU_DEP_4)
	v_dual_fmamk_f32 v189, v115, 0x3f763a35, v134 :: v_dual_add_f32 v56, v80, v56
	v_fmamk_f32 v68, v112, 0x3dbcf732, v69
	v_fmac_f32_e32 v150, 0x3f763a35, v117
	v_fmac_f32_e32 v161, 0x3f4c4adb, v113
	s_delay_alu instid0(VALU_DEP_4)
	v_add_f32_e32 v185, v189, v185
	v_fmamk_f32 v151, v114, 0xbf59a7d5, v188
	v_fmamk_f32 v189, v117, 0x3f4c4adb, v139
	v_fmac_f32_e32 v143, 0xbf7ee86f, v109
	v_fmac_f32_e32 v163, 0xbe3c28d5, v117
	;; [unrolled: 1-line block ×3, first 2 shown]
	v_add_f32_e32 v131, v151, v141
	v_fmamk_f32 v141, v116, 0xbe8c1d8e, v190
	v_mul_f32_e32 v151, 0x3f65296c, v133
	v_fmac_f32_e32 v147, 0x3f06c442, v115
	v_fmac_f32_e32 v125, 0xbeb8f4ab, v107
	;; [unrolled: 1-line block ×3, first 2 shown]
	v_add_f32_e32 v131, v141, v131
	v_fmamk_f32 v141, v118, 0x3ee437d1, v151
	v_fmac_f32_e32 v146, 0xbf4c4adb, v111
	v_fmac_f32_e32 v142, 0x3f65296c, v119
	;; [unrolled: 1-line block ×4, first 2 shown]
	v_dual_add_f32 v131, v141, v131 :: v_dual_mul_f32 v192, 0x3eb8f4ab, v138
	v_fmac_f32_e32 v134, 0xbf763a35, v115
	v_fmac_f32_e32 v191, 0xbf7ee86f, v113
	s_delay_alu instid0(VALU_DEP_3) | instskip(NEXT) | instid1(VALU_DEP_1)
	v_fmamk_f32 v141, v120, 0x3f6eb680, v192
	v_add_f32_e32 v131, v141, v131
	v_add_f32_e32 v141, v189, v185
	v_fmamk_f32 v185, v106, 0x3f6eb680, v122
	s_delay_alu instid0(VALU_DEP_1) | instskip(SKIP_1) | instid1(VALU_DEP_1)
	v_add_f32_e32 v137, v60, v185
	v_mul_f32_e32 v123, 0xbf2c7751, v123
	v_fmamk_f32 v185, v108, 0x3f3d2fb0, v123
	s_delay_alu instid0(VALU_DEP_1) | instskip(NEXT) | instid1(VALU_DEP_1)
	v_add_f32_e32 v124, v185, v137
	v_dual_add_f32 v66, v66, v124 :: v_dual_add_f32 v67, v67, v141
	s_delay_alu instid0(VALU_DEP_1) | instskip(SKIP_1) | instid1(VALU_DEP_1)
	v_add_f32_e32 v66, v68, v66
	v_dual_fmamk_f32 v68, v114, 0xbe8c1d8e, v71 :: v_dual_add_f32 v63, v77, v63
	v_dual_add_f32 v66, v68, v66 :: v_dual_add_f32 v63, v79, v63
	v_fmamk_f32 v68, v116, 0xbf1a4643, v76
	v_fmamk_f32 v77, v121, 0x3e3c28d5, v70
	s_delay_alu instid0(VALU_DEP_3) | instskip(SKIP_1) | instid1(VALU_DEP_3)
	v_dual_fmac_f32 v70, 0xbe3c28d5, v121 :: v_dual_add_f32 v63, v59, v63
	v_mul_f32_e32 v78, 0xbf06c442, v133
	v_dual_add_f32 v62, v68, v66 :: v_dual_add_f32 v59, v77, v67
	v_fma_f32 v67, 0x3f6eb680, v108, -v169
	s_delay_alu instid0(VALU_DEP_4) | instskip(NEXT) | instid1(VALU_DEP_4)
	v_add_f32_e32 v57, v57, v63
	v_fmamk_f32 v63, v118, 0xbf59a7d5, v78
	s_delay_alu instid0(VALU_DEP_2) | instskip(NEXT) | instid1(VALU_DEP_2)
	v_dual_add_f32 v57, v81, v57 :: v_dual_mul_f32 v66, 0xbe3c28d5, v138
	v_add_f32_e32 v58, v63, v62
	s_delay_alu instid0(VALU_DEP_2) | instskip(NEXT) | instid1(VALU_DEP_1)
	v_dual_add_f32 v57, v83, v57 :: v_dual_fmac_f32 v158, 0xbe3c28d5, v107
	v_dual_add_f32 v57, v73, v57 :: v_dual_fmamk_f32 v62, v120, 0xbf7ba420, v66
	s_delay_alu instid0(VALU_DEP_2) | instskip(NEXT) | instid1(VALU_DEP_2)
	v_dual_add_f32 v63, v61, v158 :: v_dual_add_f32 v56, v82, v56
	v_add_f32_e32 v5, v5, v57
	s_delay_alu instid0(VALU_DEP_2) | instskip(SKIP_1) | instid1(VALU_DEP_3)
	v_dual_add_f32 v63, v149, v63 :: v_dual_add_f32 v58, v62, v58
	v_fma_f32 v62, 0xbf7ba420, v106, -v167
	v_dual_add_f32 v56, v72, v56 :: v_dual_add_f32 v1, v1, v5
	s_delay_alu instid0(VALU_DEP_3) | instskip(SKIP_1) | instid1(VALU_DEP_4)
	v_add_f32_e32 v57, v159, v63
	v_fma_f32 v63, 0xbf59a7d5, v110, -v170
	v_add_f32_e32 v62, v60, v62
	s_delay_alu instid0(VALU_DEP_4) | instskip(NEXT) | instid1(VALU_DEP_2)
	v_dual_add_f32 v4, v4, v56 :: v_dual_add_f32 v1, v3, v1
	v_dual_add_f32 v62, v67, v62 :: v_dual_add_f32 v5, v164, v57
	s_delay_alu instid0(VALU_DEP_2) | instskip(SKIP_1) | instid1(VALU_DEP_3)
	v_add_f32_e32 v0, v0, v4
	v_fma_f32 v57, 0x3f3d2fb0, v112, -v175
	v_dual_add_f32 v1, v86, v1 :: v_dual_add_f32 v56, v63, v62
	s_delay_alu instid0(VALU_DEP_3) | instskip(SKIP_2) | instid1(VALU_DEP_4)
	v_dual_add_f32 v3, v165, v5 :: v_dual_add_f32 v0, v2, v0
	v_fma_f32 v5, 0xbf1a4643, v114, -v177
	v_fma_f32 v62, 0x3ee437d1, v108, -v186
	v_add_f32_e32 v4, v57, v56
	s_delay_alu instid0(VALU_DEP_4) | instskip(SKIP_2) | instid1(VALU_DEP_4)
	v_add_f32_e32 v2, v166, v3
	v_add_f32_e32 v0, v85, v0
	v_fma_f32 v67, 0x3dbcf732, v108, -v153
	v_add_f32_e32 v3, v5, v4
	v_fma_f32 v4, 0x3ee437d1, v116, -v178
	;; [unrolled: 2-line block ×3, first 2 shown]
	s_delay_alu instid0(VALU_DEP_2) | instskip(SKIP_1) | instid1(VALU_DEP_2)
	v_dual_add_f32 v4, v4, v3 :: v_dual_add_f32 v3, v157, v2
	v_fma_f32 v2, 0xbf59a7d5, v106, -v184
	v_add_f32_e32 v4, v5, v4
	v_fma_f32 v5, 0x3dbcf732, v120, -v154
	s_delay_alu instid0(VALU_DEP_3) | instskip(NEXT) | instid1(VALU_DEP_1)
	v_dual_add_f32 v57, v60, v2 :: v_dual_fmac_f32 v180, 0xbf06c442, v107
	v_dual_add_f32 v2, v5, v4 :: v_dual_add_f32 v5, v62, v57
	v_add_f32_e32 v57, v61, v144
	s_delay_alu instid0(VALU_DEP_3) | instskip(SKIP_4) | instid1(VALU_DEP_2)
	v_add_f32_e32 v56, v61, v180
	v_fma_f32 v62, 0x3f3d2fb0, v118, -v181
	v_fmac_f32_e32 v183, 0xbf763a35, v121
	v_fmac_f32_e32 v152, 0x3f65296c, v109
	v_add_f32_e32 v57, v143, v57
	v_dual_add_f32 v61, v61, v125 :: v_dual_add_f32 v56, v152, v56
	s_delay_alu instid0(VALU_DEP_2) | instskip(NEXT) | instid1(VALU_DEP_2)
	v_dual_add_f32 v57, v146, v57 :: v_dual_fmac_f32 v162, 0xbeb8f4ab, v115
	v_dual_add_f32 v61, v127, v61 :: v_dual_add_f32 v4, v160, v56
	v_fma_f32 v56, 0x3dbcf732, v110, -v171
	s_delay_alu instid0(VALU_DEP_3) | instskip(NEXT) | instid1(VALU_DEP_3)
	v_add_f32_e32 v57, v145, v57
	v_add_f32_e32 v61, v129, v61
	s_delay_alu instid0(VALU_DEP_3) | instskip(SKIP_1) | instid1(VALU_DEP_2)
	v_dual_add_f32 v4, v161, v4 :: v_dual_add_f32 v5, v56, v5
	v_fma_f32 v56, 0xbf1a4643, v112, -v172
	v_dual_add_f32 v57, v147, v57 :: v_dual_add_f32 v4, v162, v4
	s_delay_alu instid0(VALU_DEP_2) | instskip(SKIP_1) | instid1(VALU_DEP_3)
	v_add_f32_e32 v5, v56, v5
	v_fma_f32 v56, 0x3f6eb680, v114, -v173
	v_dual_add_f32 v57, v150, v57 :: v_dual_add_f32 v4, v163, v4
	s_delay_alu instid0(VALU_DEP_2) | instskip(SKIP_1) | instid1(VALU_DEP_3)
	v_add_f32_e32 v5, v56, v5
	v_fma_f32 v56, 0xbf7ba420, v116, -v174
	v_add_f32_e32 v4, v182, v4
	s_delay_alu instid0(VALU_DEP_2) | instskip(NEXT) | instid1(VALU_DEP_1)
	v_add_f32_e32 v56, v56, v5
	v_add_f32_e32 v56, v62, v56
	s_delay_alu instid0(VALU_DEP_3) | instskip(SKIP_2) | instid1(VALU_DEP_2)
	v_add_f32_e32 v5, v183, v4
	v_fma_f32 v4, 0x3f3d2fb0, v106, -v148
	v_fma_f32 v62, 0xbe8c1d8e, v120, -v176
	v_add_f32_e32 v63, v60, v4
	s_delay_alu instid0(VALU_DEP_2) | instskip(SKIP_2) | instid1(VALU_DEP_1)
	v_add_f32_e32 v4, v62, v56
	v_add_f32_e32 v56, v142, v57
	v_fma_f32 v57, 0x3f6eb680, v106, -v122
	v_add_f32_e32 v57, v60, v57
	v_fma_f32 v60, 0x3f3d2fb0, v108, -v123
	;; [unrolled: 2-line block ×3, first 2 shown]
	s_delay_alu instid0(VALU_DEP_3) | instskip(SKIP_1) | instid1(VALU_DEP_3)
	v_add_f32_e32 v57, v60, v57
	v_fma_f32 v60, 0x3ee437d1, v110, -v64
	v_add_f32_e32 v62, v63, v62
	v_fma_f32 v63, 0xbf7ba420, v112, -v155
	v_and_b32_e32 v64, 0xffff, v101
	s_delay_alu instid0(VALU_DEP_2) | instskip(SKIP_4) | instid1(VALU_DEP_4)
	v_add_f32_e32 v62, v63, v62
	v_fma_f32 v63, 0xbf59a7d5, v114, -v188
	v_add_f32_e32 v57, v60, v57
	v_fma_f32 v60, 0x3dbcf732, v112, -v69
	v_lshl_add_u32 v64, v64, 3, v100
	v_add_f32_e32 v62, v63, v62
	v_fma_f32 v63, 0xbe8c1d8e, v116, -v190
	s_delay_alu instid0(VALU_DEP_4) | instskip(SKIP_1) | instid1(VALU_DEP_3)
	v_add_f32_e32 v57, v60, v57
	v_fma_f32 v60, 0xbe8c1d8e, v114, -v71
	v_add_f32_e32 v62, v63, v62
	v_fma_f32 v63, 0x3ee437d1, v118, -v151
	s_delay_alu instid0(VALU_DEP_3) | instskip(SKIP_1) | instid1(VALU_DEP_3)
	v_add_f32_e32 v57, v60, v57
	v_fma_f32 v60, 0xbf1a4643, v116, -v76
	v_add_f32_e32 v62, v63, v62
	v_fma_f32 v63, 0x3f6eb680, v120, -v192
	s_delay_alu instid0(VALU_DEP_3) | instskip(SKIP_2) | instid1(VALU_DEP_2)
	v_add_f32_e32 v57, v60, v57
	v_fma_f32 v60, 0xbf59a7d5, v118, -v78
	v_fmac_f32_e32 v139, 0xbf4c4adb, v117
	v_add_f32_e32 v60, v60, v57
	v_add_f32_e32 v61, v191, v61
	;; [unrolled: 1-line block ×3, first 2 shown]
	s_delay_alu instid0(VALU_DEP_2) | instskip(NEXT) | instid1(VALU_DEP_1)
	v_dual_add_f32 v56, v63, v62 :: v_dual_add_f32 v61, v134, v61
	v_add_f32_e32 v61, v139, v61
	s_delay_alu instid0(VALU_DEP_1) | instskip(SKIP_1) | instid1(VALU_DEP_1)
	v_add_f32_e32 v61, v65, v61
	v_fma_f32 v65, 0xbf7ba420, v120, -v66
	v_dual_add_f32 v61, v70, v61 :: v_dual_add_f32 v60, v65, v60
	ds_store_2addr_b64 v64, v[0:1], v[58:59] offset1:1
	ds_store_2addr_b64 v64, v[131:132], v[135:136] offset0:2 offset1:3
	ds_store_2addr_b64 v64, v[95:96], v[93:94] offset0:4 offset1:5
	;; [unrolled: 1-line block ×7, first 2 shown]
	ds_store_b64 v64, v[60:61] offset:128
.LBB0_17:
	s_wait_alu 0xfffe
	s_or_b32 exec_lo, exec_lo, s1
	global_wb scope:SCOPE_SE
	s_wait_dscnt 0x0
	s_barrier_signal -1
	s_barrier_wait -1
	global_inv scope:SCOPE_SE
	ds_load_2addr_b64 v[0:3], v102 offset1:85
	ds_load_2addr_b64 v[58:61], v102 offset0:170 offset1:255
	v_add_nc_u32_e32 v57, 0x800, v102
	v_add_nc_u32_e32 v66, 0xc00, v102
	;; [unrolled: 1-line block ×3, first 2 shown]
	s_wait_dscnt 0x1
	v_mul_f32_e32 v76, v33, v3
	ds_load_2addr_b64 v[62:65], v57 offset0:84 offset1:169
	s_wait_dscnt 0x1
	v_mul_f32_e32 v77, v35, v59
	v_dual_mul_f32 v35, v35, v58 :: v_dual_mul_f32 v78, v29, v61
	v_mul_f32_e32 v29, v29, v60
	ds_load_b64 v[4:5], v102 offset:6800
	ds_load_2addr_b64 v[66:69], v66 offset0:126 offset1:211
	ds_load_2addr_b64 v[70:73], v56 offset0:168 offset1:253
	v_mul_f32_e32 v33, v33, v2
	v_fmac_f32_e32 v76, v32, v2
	v_dual_fmac_f32 v78, v28, v60 :: v_dual_fmac_f32 v77, v34, v58
	v_fma_f32 v28, v28, v61, -v29
	s_delay_alu instid0(VALU_DEP_4)
	v_fma_f32 v2, v32, v3, -v33
	v_fma_f32 v32, v34, v59, -v35
	global_wb scope:SCOPE_SE
	s_wait_dscnt 0x0
	s_barrier_signal -1
	s_barrier_wait -1
	v_add_f32_e32 v34, v1, v2
	global_inv scope:SCOPE_SE
	v_mul_f32_e32 v33, v31, v63
	v_mul_f32_e32 v3, v31, v62
	;; [unrolled: 1-line block ×5, first 2 shown]
	s_delay_alu instid0(VALU_DEP_3) | instskip(NEXT) | instid1(VALU_DEP_3)
	v_fmac_f32_e32 v29, v20, v64
	v_fma_f32 v20, v20, v65, -v21
	v_mul_f32_e32 v21, v23, v66
	v_dual_add_f32 v23, v34, v32 :: v_dual_mul_f32 v34, v17, v69
	v_mul_f32_e32 v17, v17, v68
	v_fmac_f32_e32 v31, v22, v66
	s_delay_alu instid0(VALU_DEP_4) | instskip(NEXT) | instid1(VALU_DEP_4)
	v_fma_f32 v21, v22, v67, -v21
	v_add_f32_e32 v22, v23, v28
	v_fmac_f32_e32 v34, v16, v68
	v_fma_f32 v16, v16, v69, -v17
	v_mul_f32_e32 v17, v19, v71
	v_mul_f32_e32 v19, v19, v70
	;; [unrolled: 1-line block ×3, first 2 shown]
	s_delay_alu instid0(VALU_DEP_3) | instskip(NEXT) | instid1(VALU_DEP_3)
	v_fmac_f32_e32 v17, v18, v70
	v_fma_f32 v18, v18, v71, -v19
	v_mul_f32_e32 v19, v27, v4
	v_mul_f32_e32 v27, v27, v5
	s_delay_alu instid0(VALU_DEP_2) | instskip(NEXT) | instid1(VALU_DEP_2)
	v_fma_f32 v5, v26, v5, -v19
	v_fmac_f32_e32 v27, v26, v4
	v_fmac_f32_e32 v33, v30, v62
	v_fma_f32 v30, v30, v63, -v3
	s_delay_alu instid0(VALU_DEP_1) | instskip(NEXT) | instid1(VALU_DEP_1)
	v_dual_add_f32 v3, v0, v76 :: v_dual_add_f32 v22, v22, v30
	v_add_f32_e32 v22, v22, v20
	s_delay_alu instid0(VALU_DEP_1) | instskip(NEXT) | instid1(VALU_DEP_1)
	v_add_f32_e32 v22, v22, v21
	v_add_f32_e32 v19, v22, v16
	v_sub_f32_e32 v22, v2, v5
	v_add_f32_e32 v3, v3, v77
	v_mul_f32_e32 v25, v25, v72
	s_delay_alu instid0(VALU_DEP_3) | instskip(SKIP_1) | instid1(VALU_DEP_3)
	v_dual_fmac_f32 v23, v24, v72 :: v_dual_mul_f32 v66, 0xbf4178ce, v22
	v_mul_f32_e32 v26, 0xbf0a6770, v22
	v_fma_f32 v4, v24, v73, -v25
	v_dual_add_f32 v24, v76, v27 :: v_dual_add_f32 v25, v2, v5
	v_add_f32_e32 v3, v3, v78
	v_add_f32_e32 v19, v19, v18
	s_delay_alu instid0(VALU_DEP_4) | instskip(NEXT) | instid1(VALU_DEP_4)
	v_sub_f32_e32 v71, v32, v4
	v_fmamk_f32 v58, v24, 0x3f575c64, v26
	v_fma_f32 v26, 0x3f575c64, v24, -v26
	v_mul_f32_e32 v60, 0x3ed4b147, v25
	v_dual_add_f32 v3, v3, v33 :: v_dual_fmamk_f32 v68, v24, 0xbf27a4f4, v66
	s_delay_alu instid0(VALU_DEP_4) | instskip(NEXT) | instid1(VALU_DEP_4)
	v_add_f32_e32 v58, v0, v58
	v_add_f32_e32 v26, v0, v26
	v_mul_f32_e32 v61, 0xbf7d64f0, v22
	s_delay_alu instid0(VALU_DEP_4) | instskip(SKIP_1) | instid1(VALU_DEP_2)
	v_dual_add_f32 v3, v3, v29 :: v_dual_add_f32 v68, v0, v68
	v_fma_f32 v66, 0xbf27a4f4, v24, -v66
	v_dual_fmamk_f32 v64, v24, 0xbe11bafb, v61 :: v_dual_add_f32 v3, v3, v31
	v_fma_f32 v61, 0xbe11bafb, v24, -v61
	s_delay_alu instid0(VALU_DEP_3) | instskip(NEXT) | instid1(VALU_DEP_3)
	v_add_f32_e32 v66, v0, v66
	v_dual_add_f32 v64, v0, v64 :: v_dual_add_f32 v3, v3, v34
	s_delay_alu instid0(VALU_DEP_3) | instskip(NEXT) | instid1(VALU_DEP_2)
	v_add_f32_e32 v61, v0, v61
	v_add_f32_e32 v3, v3, v17
	s_delay_alu instid0(VALU_DEP_1) | instskip(SKIP_4) | instid1(VALU_DEP_4)
	v_add_f32_e32 v2, v3, v23
	v_add_f32_e32 v3, v19, v4
	;; [unrolled: 1-line block ×3, first 2 shown]
	v_mul_f32_e32 v32, 0xbf68dda4, v71
	v_sub_f32_e32 v19, v76, v27
	v_dual_add_f32 v2, v2, v27 :: v_dual_add_f32 v3, v3, v5
	v_mul_f32_e32 v5, 0xbf68dda4, v22
	v_mul_f32_e32 v22, 0xbe903f40, v22
	;; [unrolled: 1-line block ×3, first 2 shown]
	s_delay_alu instid0(VALU_DEP_3) | instskip(SKIP_1) | instid1(VALU_DEP_4)
	v_fmamk_f32 v59, v24, 0x3ed4b147, v5
	v_fma_f32 v5, 0x3ed4b147, v24, -v5
	v_fmamk_f32 v70, v24, 0xbf75a155, v22
	v_fma_f32 v22, 0xbf75a155, v24, -v22
	v_dual_add_f32 v24, v77, v23 :: v_dual_mul_f32 v35, 0x3f575c64, v25
	v_mul_f32_e32 v63, 0xbe11bafb, v25
	v_mul_f32_e32 v67, 0xbf27a4f4, v25
	;; [unrolled: 1-line block ×3, first 2 shown]
	v_add_f32_e32 v59, v0, v59
	v_fmamk_f32 v73, v24, 0x3ed4b147, v32
	v_fma_f32 v32, 0x3ed4b147, v24, -v32
	s_delay_alu instid0(VALU_DEP_4)
	v_dual_add_f32 v5, v0, v5 :: v_dual_fmamk_f32 v72, v19, 0x3e903f40, v25
	v_add_f32_e32 v70, v0, v70
	v_add_f32_e32 v0, v0, v22
	;; [unrolled: 1-line block ×4, first 2 shown]
	v_mul_f32_e32 v32, 0x3e903f40, v71
	v_dual_add_f32 v72, v1, v72 :: v_dual_fmamk_f32 v65, v19, 0x3f7d64f0, v63
	v_fmamk_f32 v27, v19, 0x3f0a6770, v35
	v_fmamk_f32 v62, v19, 0x3f68dda4, v60
	v_fmac_f32_e32 v60, 0xbf68dda4, v19
	v_fmac_f32_e32 v63, 0xbf7d64f0, v19
	v_add_f32_e32 v65, v1, v65
	v_fmac_f32_e32 v35, 0xbf0a6770, v19
	v_fmamk_f32 v69, v19, 0x3f4178ce, v67
	v_fmac_f32_e32 v67, 0xbf4178ce, v19
	v_fmac_f32_e32 v25, 0xbe903f40, v19
	v_sub_f32_e32 v19, v77, v23
	v_mul_f32_e32 v23, 0x3ed4b147, v4
	v_add_f32_e32 v27, v1, v27
	v_add_f32_e32 v35, v1, v35
	;; [unrolled: 1-line block ×7, first 2 shown]
	v_dual_add_f32 v1, v1, v25 :: v_dual_fmamk_f32 v22, v19, 0x3f68dda4, v23
	v_mul_f32_e32 v25, 0xbf4178ce, v71
	v_fmac_f32_e32 v23, 0xbf68dda4, v19
	s_delay_alu instid0(VALU_DEP_2) | instskip(NEXT) | instid1(VALU_DEP_2)
	v_dual_add_f32 v22, v22, v27 :: v_dual_fmamk_f32 v27, v24, 0xbf27a4f4, v25
	v_add_f32_e32 v23, v23, v35
	v_fma_f32 v25, 0xbf27a4f4, v24, -v25
	s_delay_alu instid0(VALU_DEP_3) | instskip(SKIP_2) | instid1(VALU_DEP_4)
	v_add_f32_e32 v27, v27, v59
	v_fmamk_f32 v59, v24, 0xbf75a155, v32
	v_fma_f32 v32, 0xbf75a155, v24, -v32
	v_add_f32_e32 v5, v25, v5
	s_delay_alu instid0(VALU_DEP_3) | instskip(SKIP_3) | instid1(VALU_DEP_3)
	v_add_f32_e32 v59, v59, v64
	v_mul_f32_e32 v73, 0xbf27a4f4, v4
	v_mul_f32_e32 v64, 0xbe11bafb, v4
	v_mul_f32_e32 v4, 0x3f575c64, v4
	v_fmamk_f32 v35, v19, 0x3f4178ce, v73
	v_fmac_f32_e32 v73, 0xbf4178ce, v19
	s_delay_alu instid0(VALU_DEP_1) | instskip(SKIP_3) | instid1(VALU_DEP_4)
	v_dual_add_f32 v25, v73, v60 :: v_dual_fmamk_f32 v60, v19, 0xbe903f40, v76
	v_fmac_f32_e32 v76, 0x3e903f40, v19
	v_dual_add_f32 v32, v32, v61 :: v_dual_fmamk_f32 v61, v19, 0xbf7d64f0, v64
	v_fmac_f32_e32 v64, 0x3f7d64f0, v19
	v_add_f32_e32 v60, v60, v65
	s_delay_alu instid0(VALU_DEP_3)
	v_add_f32_e32 v61, v61, v69
	v_add_f32_e32 v69, v78, v17
	v_sub_f32_e32 v17, v78, v17
	v_dual_add_f32 v35, v35, v62 :: v_dual_mul_f32 v62, 0x3f7d64f0, v71
	v_mul_f32_e32 v71, 0x3f0a6770, v71
	v_add_f32_e32 v64, v64, v67
	s_delay_alu instid0(VALU_DEP_3) | instskip(SKIP_1) | instid1(VALU_DEP_1)
	v_fmamk_f32 v65, v24, 0xbe11bafb, v62
	v_fma_f32 v62, 0xbe11bafb, v24, -v62
	v_add_f32_e32 v62, v62, v66
	v_sub_f32_e32 v66, v28, v18
	s_delay_alu instid0(VALU_DEP_4) | instskip(SKIP_2) | instid1(VALU_DEP_3)
	v_dual_add_f32 v18, v28, v18 :: v_dual_add_f32 v65, v65, v68
	v_fmamk_f32 v68, v24, 0x3f575c64, v71
	v_fma_f32 v24, 0x3f575c64, v24, -v71
	v_mul_f32_e32 v28, 0xbe11bafb, v18
	v_mul_f32_e32 v71, 0x3f575c64, v18
	s_delay_alu instid0(VALU_DEP_4)
	v_add_f32_e32 v67, v68, v70
	v_mul_f32_e32 v70, 0xbf7d64f0, v66
	v_fmamk_f32 v68, v19, 0xbf0a6770, v4
	v_fmac_f32_e32 v4, 0x3f0a6770, v19
	v_add_f32_e32 v0, v24, v0
	v_mul_f32_e32 v24, 0x3e903f40, v66
	s_delay_alu instid0(VALU_DEP_4) | instskip(NEXT) | instid1(VALU_DEP_1)
	v_dual_fmamk_f32 v19, v69, 0xbe11bafb, v70 :: v_dual_add_f32 v68, v68, v72
	v_dual_add_f32 v1, v4, v1 :: v_dual_add_f32 v4, v19, v58
	v_fmamk_f32 v19, v17, 0x3f7d64f0, v28
	v_fma_f32 v58, 0xbe11bafb, v69, -v70
	v_fmac_f32_e32 v28, 0xbf7d64f0, v17
	v_dual_mul_f32 v70, 0xbf75a155, v18 :: v_dual_add_f32 v63, v76, v63
	s_delay_alu instid0(VALU_DEP_4) | instskip(NEXT) | instid1(VALU_DEP_3)
	v_dual_add_f32 v19, v19, v22 :: v_dual_fmamk_f32 v22, v69, 0xbf75a155, v24
	v_dual_add_f32 v26, v58, v26 :: v_dual_add_f32 v23, v28, v23
	s_delay_alu instid0(VALU_DEP_3) | instskip(SKIP_1) | instid1(VALU_DEP_4)
	v_fmamk_f32 v28, v17, 0xbe903f40, v70
	v_mul_f32_e32 v58, 0x3f68dda4, v66
	v_add_f32_e32 v22, v22, v27
	s_delay_alu instid0(VALU_DEP_3) | instskip(NEXT) | instid1(VALU_DEP_3)
	v_dual_fmac_f32 v70, 0x3e903f40, v17 :: v_dual_add_f32 v27, v28, v35
	v_dual_fmamk_f32 v28, v69, 0x3ed4b147, v58 :: v_dual_mul_f32 v35, 0x3ed4b147, v18
	v_mul_f32_e32 v18, 0xbf27a4f4, v18
	s_delay_alu instid0(VALU_DEP_2) | instskip(NEXT) | instid1(VALU_DEP_1)
	v_dual_add_f32 v28, v28, v59 :: v_dual_fmamk_f32 v59, v17, 0xbf68dda4, v35
	v_dual_add_f32 v59, v59, v60 :: v_dual_fmamk_f32 v60, v17, 0x3f0a6770, v71
	v_fma_f32 v24, 0xbf75a155, v69, -v24
	v_fma_f32 v58, 0x3ed4b147, v69, -v58
	s_delay_alu instid0(VALU_DEP_2) | instskip(SKIP_1) | instid1(VALU_DEP_3)
	v_add_f32_e32 v5, v24, v5
	v_dual_add_f32 v24, v70, v25 :: v_dual_mul_f32 v25, 0xbf0a6770, v66
	v_add_f32_e32 v32, v58, v32
	s_delay_alu instid0(VALU_DEP_2) | instskip(SKIP_2) | instid1(VALU_DEP_2)
	v_fmamk_f32 v70, v69, 0x3f575c64, v25
	v_fmac_f32_e32 v35, 0x3f68dda4, v17
	v_fma_f32 v25, 0x3f575c64, v69, -v25
	v_dual_add_f32 v58, v70, v65 :: v_dual_add_f32 v35, v35, v63
	v_fmac_f32_e32 v71, 0xbf0a6770, v17
	s_delay_alu instid0(VALU_DEP_3) | instskip(SKIP_2) | instid1(VALU_DEP_4)
	v_add_f32_e32 v25, v25, v62
	v_mul_f32_e32 v63, 0xbf4178ce, v66
	v_add_f32_e32 v66, v33, v34
	v_dual_fmamk_f32 v65, v17, 0x3f4178ce, v18 :: v_dual_add_f32 v62, v71, v64
	v_sub_f32_e32 v64, v30, v16
	v_add_f32_e32 v16, v30, v16
	v_dual_fmac_f32 v18, 0xbf4178ce, v17 :: v_dual_sub_f32 v17, v33, v34
	s_delay_alu instid0(VALU_DEP_3) | instskip(SKIP_1) | instid1(VALU_DEP_2)
	v_mul_f32_e32 v30, 0xbf4178ce, v64
	v_dual_add_f32 v60, v60, v61 :: v_dual_fmamk_f32 v61, v69, 0xbf27a4f4, v63
	v_dual_mul_f32 v33, 0xbf27a4f4, v16 :: v_dual_fmamk_f32 v34, v66, 0xbf27a4f4, v30
	v_fma_f32 v30, 0xbf27a4f4, v66, -v30
	s_delay_alu instid0(VALU_DEP_2) | instskip(NEXT) | instid1(VALU_DEP_2)
	v_dual_add_f32 v61, v61, v67 :: v_dual_add_f32 v4, v34, v4
	v_add_f32_e32 v26, v30, v26
	v_dual_mul_f32 v30, 0xbf0a6770, v64 :: v_dual_add_f32 v1, v18, v1
	v_mul_f32_e32 v18, 0x3f7d64f0, v64
	s_delay_alu instid0(VALU_DEP_2) | instskip(SKIP_1) | instid1(VALU_DEP_3)
	v_fmamk_f32 v67, v66, 0x3f575c64, v30
	v_fma_f32 v30, 0x3f575c64, v66, -v30
	v_fmamk_f32 v34, v66, 0xbe11bafb, v18
	v_fma_f32 v18, 0xbe11bafb, v66, -v18
	s_delay_alu instid0(VALU_DEP_4) | instskip(SKIP_1) | instid1(VALU_DEP_4)
	v_add_f32_e32 v28, v67, v28
	v_fma_f32 v63, 0xbf27a4f4, v69, -v63
	v_add_f32_e32 v22, v34, v22
	v_mul_f32_e32 v34, 0x3f575c64, v16
	v_add_f32_e32 v18, v18, v5
	v_add_f32_e32 v30, v30, v32
	v_dual_add_f32 v0, v63, v0 :: v_dual_fmamk_f32 v63, v17, 0x3f4178ce, v33
	v_fmac_f32_e32 v33, 0xbf4178ce, v17
	v_fmamk_f32 v5, v17, 0x3f0a6770, v34
	s_delay_alu instid0(VALU_DEP_3) | instskip(SKIP_1) | instid1(VALU_DEP_4)
	v_dual_fmac_f32 v34, 0xbf0a6770, v17 :: v_dual_add_f32 v19, v63, v19
	v_mul_f32_e32 v63, 0xbe11bafb, v16
	v_add_f32_e32 v23, v33, v23
	s_delay_alu instid0(VALU_DEP_3) | instskip(SKIP_1) | instid1(VALU_DEP_4)
	v_add_f32_e32 v32, v34, v35
	v_mul_f32_e32 v34, 0x3f68dda4, v64
	v_fmamk_f32 v33, v17, 0xbf7d64f0, v63
	v_fmac_f32_e32 v63, 0x3f7d64f0, v17
	s_delay_alu instid0(VALU_DEP_2) | instskip(SKIP_1) | instid1(VALU_DEP_1)
	v_add_f32_e32 v27, v33, v27
	v_mul_f32_e32 v33, 0xbe903f40, v64
	v_dual_add_f32 v24, v63, v24 :: v_dual_fmamk_f32 v63, v66, 0xbf75a155, v33
	v_fma_f32 v33, 0xbf75a155, v66, -v33
	s_delay_alu instid0(VALU_DEP_2) | instskip(NEXT) | instid1(VALU_DEP_2)
	v_dual_add_f32 v58, v63, v58 :: v_dual_fmamk_f32 v63, v66, 0x3ed4b147, v34
	v_add_f32_e32 v33, v33, v25
	v_sub_f32_e32 v25, v20, v21
	v_add_f32_e32 v59, v5, v59
	v_mul_f32_e32 v5, 0xbf75a155, v16
	v_fma_f32 v34, 0x3ed4b147, v66, -v34
	v_dual_mul_f32 v16, 0x3ed4b147, v16 :: v_dual_add_f32 v61, v63, v61
	v_add_f32_e32 v63, v29, v31
	s_delay_alu instid0(VALU_DEP_3) | instskip(SKIP_2) | instid1(VALU_DEP_1)
	v_dual_sub_f32 v29, v29, v31 :: v_dual_add_f32 v34, v34, v0
	v_fmamk_f32 v35, v17, 0x3e903f40, v5
	v_fmac_f32_e32 v5, 0xbe903f40, v17
	v_dual_add_f32 v35, v35, v60 :: v_dual_add_f32 v60, v5, v62
	v_dual_fmamk_f32 v5, v17, 0xbf68dda4, v16 :: v_dual_add_f32 v62, v20, v21
	v_dual_add_f32 v65, v65, v68 :: v_dual_mul_f32 v20, 0xbe903f40, v25
	v_fmac_f32_e32 v16, 0x3f68dda4, v17
	v_mul_f32_e32 v21, 0x3f0a6770, v25
	s_delay_alu instid0(VALU_DEP_4) | instskip(NEXT) | instid1(VALU_DEP_4)
	v_mul_f32_e32 v17, 0xbf75a155, v62
	v_add_f32_e32 v31, v5, v65
	v_fmamk_f32 v5, v63, 0xbf75a155, v20
	s_delay_alu instid0(VALU_DEP_1) | instskip(NEXT) | instid1(VALU_DEP_4)
	v_add_f32_e32 v0, v5, v4
	v_dual_add_f32 v64, v16, v1 :: v_dual_fmamk_f32 v1, v29, 0x3e903f40, v17
	v_fmac_f32_e32 v17, 0xbe903f40, v29
	v_fma_f32 v4, 0xbf75a155, v63, -v20
	v_fmamk_f32 v16, v63, 0x3f575c64, v21
	v_fma_f32 v20, 0x3f575c64, v63, -v21
	s_delay_alu instid0(VALU_DEP_4) | instskip(NEXT) | instid1(VALU_DEP_4)
	v_add_f32_e32 v5, v17, v23
	v_dual_mul_f32 v23, 0xbf4178ce, v25 :: v_dual_add_f32 v4, v4, v26
	v_mul_f32_e32 v26, 0xbf27a4f4, v62
	s_delay_alu instid0(VALU_DEP_4) | instskip(NEXT) | instid1(VALU_DEP_3)
	v_add_f32_e32 v18, v20, v18
	v_dual_add_f32 v16, v16, v22 :: v_dual_fmamk_f32 v21, v63, 0xbf27a4f4, v23
	v_fma_f32 v22, 0xbf27a4f4, v63, -v23
	s_delay_alu instid0(VALU_DEP_2) | instskip(SKIP_2) | instid1(VALU_DEP_4)
	v_add_f32_e32 v20, v21, v28
	v_fmamk_f32 v21, v29, 0x3f4178ce, v26
	v_fmac_f32_e32 v26, 0xbf4178ce, v29
	v_add_f32_e32 v22, v22, v30
	s_delay_alu instid0(VALU_DEP_2) | instskip(SKIP_2) | instid1(VALU_DEP_1)
	v_dual_add_f32 v23, v26, v32 :: v_dual_mul_f32 v32, 0xbe11bafb, v62
	v_add_f32_e32 v1, v1, v19
	v_mul_f32_e32 v19, 0x3f575c64, v62
	v_fmamk_f32 v17, v29, 0xbf0a6770, v19
	v_fmac_f32_e32 v19, 0x3f0a6770, v29
	s_delay_alu instid0(VALU_DEP_2) | instskip(NEXT) | instid1(VALU_DEP_2)
	v_add_f32_e32 v17, v17, v27
	v_dual_add_f32 v19, v19, v24 :: v_dual_mul_f32 v24, 0x3f68dda4, v25
	v_mul_f32_e32 v27, 0x3ed4b147, v62
	s_delay_alu instid0(VALU_DEP_2) | instskip(NEXT) | instid1(VALU_DEP_2)
	v_dual_add_f32 v21, v21, v59 :: v_dual_fmamk_f32 v28, v63, 0x3ed4b147, v24
	v_fmamk_f32 v26, v29, 0xbf68dda4, v27
	v_fma_f32 v30, 0x3ed4b147, v63, -v24
	s_delay_alu instid0(VALU_DEP_3) | instskip(NEXT) | instid1(VALU_DEP_3)
	v_add_f32_e32 v24, v28, v58
	v_dual_mul_f32 v28, 0xbf7d64f0, v25 :: v_dual_add_f32 v25, v26, v35
	s_delay_alu instid0(VALU_DEP_3) | instskip(NEXT) | instid1(VALU_DEP_2)
	v_add_f32_e32 v26, v30, v33
	v_fmamk_f32 v30, v63, 0xbe11bafb, v28
	v_fmamk_f32 v33, v29, 0x3f7d64f0, v32
	v_fmac_f32_e32 v32, 0xbf7d64f0, v29
	v_fmac_f32_e32 v27, 0x3f68dda4, v29
	v_fma_f32 v35, 0xbe11bafb, v63, -v28
	s_delay_alu instid0(VALU_DEP_4) | instskip(SKIP_1) | instid1(VALU_DEP_4)
	v_dual_add_f32 v28, v30, v61 :: v_dual_add_f32 v29, v33, v31
	v_add_nc_u32_e32 v33, 0x400, v102
	v_add_f32_e32 v27, v27, v60
	s_delay_alu instid0(VALU_DEP_4)
	v_dual_add_f32 v30, v35, v34 :: v_dual_add_f32 v31, v32, v64
	v_add_nc_u32_e32 v32, 0x2a8, v105
	ds_store_2addr_b64 v103, v[2:3], v[0:1] offset1:17
	ds_store_2addr_b64 v103, v[16:17], v[20:21] offset0:34 offset1:51
	ds_store_2addr_b64 v103, v[24:25], v[28:29] offset0:68 offset1:85
	;; [unrolled: 1-line block ×4, first 2 shown]
	ds_store_b64 v103, v[4:5] offset:1360
	v_add_nc_u32_e32 v16, 0x1400, v102
	global_wb scope:SCOPE_SE
	s_wait_dscnt 0x0
	s_barrier_signal -1
	s_barrier_wait -1
	global_inv scope:SCOPE_SE
	ds_load_2addr_b64 v[0:3], v102 offset1:85
	ds_load_2addr_b64 v[28:31], v33 offset0:59 offset1:144
	ds_load_2addr_b64 v[24:27], v57 offset0:118 offset1:203
	;; [unrolled: 1-line block ×4, first 2 shown]
	s_and_saveexec_b32 s1, s0
	s_cbranch_execz .LBB0_19
; %bb.18:
	ds_load_2addr_b64 v[4:7], v33 offset0:42 offset1:229
	ds_load_2addr_b64 v[52:55], v56 offset0:32 offset1:219
	ds_load_b64 v[74:75], v102 offset:7344
.LBB0_19:
	s_wait_alu 0xfffe
	s_or_b32 exec_lo, exec_lo, s1
	s_wait_dscnt 0x3
	v_mul_f32_e32 v33, v45, v29
	s_wait_dscnt 0x2
	v_dual_mul_f32 v34, v45, v28 :: v_dual_mul_f32 v35, v47, v25
	v_mul_f32_e32 v45, v47, v24
	s_delay_alu instid0(VALU_DEP_3) | instskip(NEXT) | instid1(VALU_DEP_3)
	v_fmac_f32_e32 v33, v44, v28
	v_fma_f32 v28, v44, v29, -v34
	s_wait_dscnt 0x1
	v_mul_f32_e32 v29, v41, v21
	s_wait_dscnt 0x0
	v_dual_mul_f32 v34, v41, v20 :: v_dual_mul_f32 v41, v43, v17
	v_fmac_f32_e32 v35, v46, v24
	v_fma_f32 v24, v46, v25, -v45
	v_fmac_f32_e32 v29, v40, v20
	s_delay_alu instid0(VALU_DEP_4) | instskip(SKIP_4) | instid1(VALU_DEP_4)
	v_fma_f32 v25, v40, v21, -v34
	v_mul_f32_e32 v34, v49, v31
	v_mul_f32_e32 v40, v51, v27
	;; [unrolled: 1-line block ×4, first 2 shown]
	v_fmac_f32_e32 v34, v48, v30
	s_delay_alu instid0(VALU_DEP_4)
	v_fmac_f32_e32 v40, v50, v26
	v_fmac_f32_e32 v41, v42, v16
	v_mul_f32_e32 v16, v43, v16
	v_fma_f32 v43, v48, v31, -v20
	v_add_f32_e32 v20, v0, v33
	v_fma_f32 v44, v50, v27, -v21
	s_delay_alu instid0(VALU_DEP_4)
	v_fma_f32 v42, v42, v17, -v16
	v_add_f32_e32 v16, v35, v29
	v_sub_f32_e32 v26, v41, v29
	v_mul_f32_e32 v31, v37, v23
	v_mul_f32_e32 v17, v37, v22
	v_sub_f32_e32 v21, v28, v42
	v_fma_f32 v16, -0.5, v16, v0
	v_mul_f32_e32 v37, v39, v18
	v_dual_fmac_f32 v31, v36, v22 :: v_dual_add_f32 v30, v33, v41
	v_sub_f32_e32 v22, v33, v35
	v_mul_f32_e32 v27, v39, v19
	v_fma_f32 v36, v36, v23, -v17
	v_dual_add_f32 v17, v20, v35 :: v_dual_fmamk_f32 v20, v21, 0xbf737871, v16
	v_fmac_f32_e32 v16, 0x3f737871, v21
	v_dual_add_f32 v26, v22, v26 :: v_dual_sub_f32 v23, v24, v25
	v_fma_f32 v37, v38, v19, -v37
	s_delay_alu instid0(VALU_DEP_2) | instskip(NEXT) | instid1(VALU_DEP_1)
	v_fmac_f32_e32 v20, 0xbf167918, v23
	v_dual_fmac_f32 v20, 0x3e9e377a, v26 :: v_dual_add_f32 v17, v17, v29
	v_fmac_f32_e32 v27, v38, v18
	v_fma_f32 v18, -0.5, v30, v0
	v_dual_sub_f32 v19, v29, v41 :: v_dual_fmac_f32 v16, 0x3f167918, v23
	v_dual_add_f32 v30, v1, v28 :: v_dual_sub_f32 v29, v35, v29
	s_delay_alu instid0(VALU_DEP_3) | instskip(SKIP_3) | instid1(VALU_DEP_4)
	v_fmamk_f32 v0, v23, 0x3f737871, v18
	v_add_f32_e32 v22, v17, v41
	v_dual_sub_f32 v17, v35, v33 :: v_dual_fmac_f32 v18, 0xbf737871, v23
	v_add_f32_e32 v38, v24, v25
	v_dual_fmac_f32 v0, 0xbf167918, v21 :: v_dual_add_f32 v23, v30, v24
	s_delay_alu instid0(VALU_DEP_3) | instskip(SKIP_1) | instid1(VALU_DEP_4)
	v_add_f32_e32 v19, v17, v19
	v_dual_sub_f32 v30, v33, v41 :: v_dual_sub_f32 v33, v28, v24
	v_fma_f32 v17, -0.5, v38, v1
	s_delay_alu instid0(VALU_DEP_4) | instskip(SKIP_1) | instid1(VALU_DEP_3)
	v_dual_fmac_f32 v16, 0x3e9e377a, v26 :: v_dual_add_f32 v23, v23, v25
	v_fmac_f32_e32 v18, 0x3f167918, v21
	v_dual_add_f32 v26, v28, v42 :: v_dual_fmamk_f32 v21, v30, 0x3f737871, v17
	v_dual_fmac_f32 v0, 0x3e9e377a, v19 :: v_dual_sub_f32 v35, v42, v25
	s_delay_alu instid0(VALU_DEP_3) | instskip(SKIP_1) | instid1(VALU_DEP_4)
	v_dual_add_f32 v23, v23, v42 :: v_dual_fmac_f32 v18, 0x3e9e377a, v19
	v_sub_f32_e32 v25, v25, v42
	v_fma_f32 v19, -0.5, v26, v1
	v_dual_fmac_f32 v17, 0xbf737871, v30 :: v_dual_sub_f32 v24, v24, v28
	v_dual_add_f32 v28, v40, v31 :: v_dual_fmac_f32 v21, 0x3f167918, v29
	v_add_f32_e32 v26, v33, v35
	s_delay_alu instid0(VALU_DEP_4) | instskip(NEXT) | instid1(VALU_DEP_4)
	v_fmamk_f32 v1, v29, 0xbf737871, v19
	v_fmac_f32_e32 v17, 0xbf167918, v29
	v_fmac_f32_e32 v19, 0x3f737871, v29
	v_sub_f32_e32 v35, v27, v31
	v_sub_f32_e32 v33, v43, v37
	v_add_f32_e32 v25, v24, v25
	v_fma_f32 v24, -0.5, v28, v2
	v_add_f32_e32 v29, v2, v34
	v_fmac_f32_e32 v21, 0x3e9e377a, v26
	v_dual_fmac_f32 v1, 0x3f167918, v30 :: v_dual_add_f32 v38, v34, v27
	s_delay_alu instid0(VALU_DEP_3) | instskip(SKIP_1) | instid1(VALU_DEP_3)
	v_add_f32_e32 v28, v29, v40
	v_sub_f32_e32 v29, v44, v36
	v_fma_f32 v2, -0.5, v38, v2
	v_sub_f32_e32 v38, v40, v34
	s_delay_alu instid0(VALU_DEP_4) | instskip(SKIP_2) | instid1(VALU_DEP_3)
	v_dual_add_f32 v28, v28, v31 :: v_dual_fmac_f32 v19, 0xbf167918, v30
	v_dual_sub_f32 v30, v34, v40 :: v_dual_fmac_f32 v17, 0x3e9e377a, v26
	v_sub_f32_e32 v34, v34, v27
	v_add_f32_e32 v28, v28, v27
	s_delay_alu instid0(VALU_DEP_3) | instskip(SKIP_2) | instid1(VALU_DEP_1)
	v_add_f32_e32 v30, v30, v35
	v_fmamk_f32 v26, v33, 0xbf737871, v24
	v_fmac_f32_e32 v24, 0x3f737871, v33
	v_fmac_f32_e32 v24, 0x3f167918, v29
	s_delay_alu instid0(VALU_DEP_1) | instskip(NEXT) | instid1(VALU_DEP_4)
	v_fmac_f32_e32 v24, 0x3e9e377a, v30
	v_fmac_f32_e32 v26, 0xbf167918, v29
	;; [unrolled: 1-line block ×4, first 2 shown]
	v_add_f32_e32 v25, v3, v43
	s_delay_alu instid0(VALU_DEP_4) | instskip(SKIP_1) | instid1(VALU_DEP_3)
	v_dual_add_f32 v35, v44, v36 :: v_dual_fmac_f32 v26, 0x3e9e377a, v30
	v_dual_fmamk_f32 v30, v29, 0x3f737871, v2 :: v_dual_sub_f32 v39, v31, v27
	v_dual_fmac_f32 v2, 0xbf737871, v29 :: v_dual_add_f32 v29, v25, v44
	s_delay_alu instid0(VALU_DEP_3) | instskip(NEXT) | instid1(VALU_DEP_3)
	v_fma_f32 v25, -0.5, v35, v3
	v_dual_fmac_f32 v30, 0xbf167918, v33 :: v_dual_add_f32 v35, v38, v39
	s_delay_alu instid0(VALU_DEP_3) | instskip(SKIP_2) | instid1(VALU_DEP_4)
	v_fmac_f32_e32 v2, 0x3f167918, v33
	v_add_f32_e32 v33, v43, v37
	v_dual_add_f32 v29, v29, v36 :: v_dual_sub_f32 v38, v40, v31
	v_fmac_f32_e32 v30, 0x3e9e377a, v35
	v_fmamk_f32 v27, v34, 0x3f737871, v25
	s_delay_alu instid0(VALU_DEP_4) | instskip(NEXT) | instid1(VALU_DEP_4)
	v_dual_fmac_f32 v3, -0.5, v33 :: v_dual_fmac_f32 v2, 0x3e9e377a, v35
	v_add_f32_e32 v29, v29, v37
	v_sub_f32_e32 v33, v43, v44
	v_sub_f32_e32 v35, v37, v36
	s_delay_alu instid0(VALU_DEP_4) | instskip(SKIP_3) | instid1(VALU_DEP_4)
	v_fmamk_f32 v31, v38, 0xbf737871, v3
	v_fmac_f32_e32 v3, 0x3f737871, v38
	v_fmac_f32_e32 v25, 0xbf737871, v34
	v_sub_f32_e32 v39, v44, v43
	v_dual_sub_f32 v36, v36, v37 :: v_dual_fmac_f32 v31, 0x3f167918, v34
	s_delay_alu instid0(VALU_DEP_4)
	v_fmac_f32_e32 v3, 0xbf167918, v34
	v_add_nc_u32_e32 v34, 0x400, v104
	v_fmac_f32_e32 v27, 0x3f167918, v38
	v_add_f32_e32 v33, v33, v35
	v_fmac_f32_e32 v25, 0xbf167918, v38
	ds_store_2addr_b64 v34, v[20:21], v[0:1] offset0:59 offset1:246
	v_add_nc_u32_e32 v20, 0x1000, v32
	v_add_f32_e32 v35, v39, v36
	v_fmac_f32_e32 v27, 0x3e9e377a, v33
	v_fmac_f32_e32 v25, 0x3e9e377a, v33
	v_add_nc_u32_e32 v33, 0x1000, v104
	v_lshl_add_u32 v0, v99, 3, v97
	v_fmac_f32_e32 v31, 0x3e9e377a, v35
	v_add_nc_u32_e32 v1, 0x400, v32
	v_fmac_f32_e32 v3, 0x3e9e377a, v35
	ds_store_2addr_b64 v33, v[18:19], v[16:17] offset0:49 offset1:236
	ds_store_2addr_b64 v104, v[22:23], v[28:29] offset1:85
	ds_store_2addr_b64 v1, v[26:27], v[30:31] offset0:59 offset1:246
	ds_store_2addr_b64 v20, v[2:3], v[24:25] offset0:49 offset1:236
	s_and_saveexec_b32 s1, s0
	s_cbranch_execz .LBB0_21
; %bb.20:
	v_dual_mul_f32 v3, v15, v52 :: v_dual_mul_f32 v16, v9, v55
	v_mul_f32_e32 v15, v15, v53
	s_delay_alu instid0(VALU_DEP_2) | instskip(NEXT) | instid1(VALU_DEP_3)
	v_fma_f32 v3, v14, v53, -v3
	v_fmac_f32_e32 v16, v8, v54
	v_mul_f32_e32 v1, v13, v6
	s_delay_alu instid0(VALU_DEP_4) | instskip(SKIP_1) | instid1(VALU_DEP_3)
	v_dual_mul_f32 v2, v11, v74 :: v_dual_fmac_f32 v15, v14, v52
	v_mul_f32_e32 v11, v11, v75
	v_fma_f32 v17, v12, v7, -v1
	s_delay_alu instid0(VALU_DEP_3) | instskip(SKIP_2) | instid1(VALU_DEP_3)
	v_fma_f32 v18, v10, v75, -v2
	v_mul_f32_e32 v1, v9, v54
	v_mul_f32_e32 v9, v13, v7
	v_add_f32_e32 v2, v17, v18
	s_delay_alu instid0(VALU_DEP_3) | instskip(SKIP_1) | instid1(VALU_DEP_3)
	v_fma_f32 v7, v8, v55, -v1
	v_sub_f32_e32 v8, v3, v17
	v_fma_f32 v2, -0.5, v2, v5
	v_fmac_f32_e32 v11, v10, v74
	s_delay_alu instid0(VALU_DEP_4) | instskip(SKIP_1) | instid1(VALU_DEP_2)
	v_sub_f32_e32 v10, v7, v18
	v_sub_f32_e32 v1, v15, v16
	v_dual_sub_f32 v19, v18, v7 :: v_dual_add_f32 v14, v8, v10
	s_delay_alu instid0(VALU_DEP_2) | instskip(SKIP_1) | instid1(VALU_DEP_2)
	v_dual_fmac_f32 v9, v12, v6 :: v_dual_fmamk_f32 v6, v1, 0x3f737871, v2
	v_add_f32_e32 v12, v3, v7
	v_dual_fmac_f32 v2, 0xbf737871, v1 :: v_dual_sub_f32 v13, v9, v11
	s_delay_alu instid0(VALU_DEP_2) | instskip(SKIP_2) | instid1(VALU_DEP_3)
	v_fma_f32 v8, -0.5, v12, v5
	v_sub_f32_e32 v12, v17, v3
	v_add_f32_e32 v5, v5, v17
	v_fmamk_f32 v10, v13, 0xbf737871, v8
	s_delay_alu instid0(VALU_DEP_1) | instskip(SKIP_4) | instid1(VALU_DEP_4)
	v_fmac_f32_e32 v10, 0xbf167918, v1
	v_fmac_f32_e32 v6, 0xbf167918, v13
	;; [unrolled: 1-line block ×4, first 2 shown]
	v_dual_sub_f32 v13, v15, v9 :: v_dual_add_f32 v12, v12, v19
	v_fmac_f32_e32 v6, 0x3e9e377a, v14
	s_delay_alu instid0(VALU_DEP_3) | instskip(SKIP_4) | instid1(VALU_DEP_3)
	v_dual_fmac_f32 v8, 0x3f167918, v1 :: v_dual_add_f32 v1, v5, v3
	v_fmac_f32_e32 v2, 0x3e9e377a, v14
	v_sub_f32_e32 v14, v16, v11
	v_add_f32_e32 v5, v9, v11
	v_sub_f32_e32 v3, v3, v7
	v_dual_add_f32 v13, v13, v14 :: v_dual_fmac_f32 v10, 0x3e9e377a, v12
	v_fmac_f32_e32 v8, 0x3e9e377a, v12
	v_dual_add_f32 v12, v1, v7 :: v_dual_add_f32 v7, v15, v16
	v_fma_f32 v1, -0.5, v5, v4
	v_sub_f32_e32 v14, v17, v18
	v_sub_f32_e32 v17, v9, v15
	s_delay_alu instid0(VALU_DEP_4) | instskip(NEXT) | instid1(VALU_DEP_4)
	v_fma_f32 v7, -0.5, v7, v4
	v_dual_fmamk_f32 v5, v3, 0xbf737871, v1 :: v_dual_add_f32 v12, v12, v18
	v_dual_fmac_f32 v1, 0x3f737871, v3 :: v_dual_add_f32 v4, v4, v9
	s_delay_alu instid0(VALU_DEP_3) | instskip(SKIP_1) | instid1(VALU_DEP_2)
	v_dual_fmamk_f32 v9, v14, 0x3f737871, v7 :: v_dual_sub_f32 v18, v11, v16
	v_fmac_f32_e32 v7, 0xbf737871, v14
	v_fmac_f32_e32 v9, 0x3f167918, v3
	s_delay_alu instid0(VALU_DEP_2) | instskip(SKIP_3) | instid1(VALU_DEP_3)
	v_fmac_f32_e32 v7, 0xbf167918, v3
	v_dual_add_f32 v4, v4, v15 :: v_dual_fmac_f32 v5, 0x3f167918, v14
	v_fmac_f32_e32 v1, 0xbf167918, v14
	v_dual_add_f32 v14, v17, v18 :: v_dual_add_nc_u32 v3, 0x400, v0
	v_dual_add_f32 v4, v4, v16 :: v_dual_fmac_f32 v5, 0x3e9e377a, v13
	s_delay_alu instid0(VALU_DEP_3) | instskip(NEXT) | instid1(VALU_DEP_3)
	v_fmac_f32_e32 v1, 0x3e9e377a, v13
	v_fmac_f32_e32 v7, 0x3e9e377a, v14
	;; [unrolled: 1-line block ×3, first 2 shown]
	s_delay_alu instid0(VALU_DEP_4)
	v_dual_add_f32 v11, v4, v11 :: v_dual_add_nc_u32 v4, 0x1000, v0
	ds_store_2addr_b64 v3, v[11:12], v[7:8] offset0:42 offset1:229
	ds_store_2addr_b64 v4, v[1:2], v[5:6] offset0:32 offset1:219
	ds_store_b64 v0, v[9:10] offset:7344
.LBB0_21:
	s_wait_alu 0xfffe
	s_or_b32 exec_lo, exec_lo, s1
	global_wb scope:SCOPE_SE
	s_wait_dscnt 0x0
	s_barrier_signal -1
	s_barrier_wait -1
	global_inv scope:SCOPE_SE
	s_and_b32 exec_lo, exec_lo, vcc_lo
	s_cbranch_execz .LBB0_23
; %bb.22:
	global_load_b64 v[1:2], v97, s[8:9]
	ds_load_b64 v[3:4], v104
	v_mad_co_u64_u32 v[7:8], null, s4, v98, 0
	s_mov_b32 s0, 0xfa401186
	s_mov_b32 s1, 0x3f5185e2
	s_mul_u64 s[2:3], s[4:5], 0x1b8
	s_wait_loadcnt_dscnt 0x0
	v_mul_f32_e32 v5, v4, v2
	v_mul_f32_e32 v2, v3, v2
	s_delay_alu instid0(VALU_DEP_2) | instskip(NEXT) | instid1(VALU_DEP_2)
	v_fmac_f32_e32 v5, v3, v1
	v_fma_f32 v3, v1, v4, -v2
	s_delay_alu instid0(VALU_DEP_2) | instskip(NEXT) | instid1(VALU_DEP_2)
	v_cvt_f64_f32_e32 v[1:2], v5
	v_cvt_f64_f32_e32 v[3:4], v3
	v_mad_co_u64_u32 v[5:6], null, s6, v84, 0
	s_wait_alu 0xfffe
	s_delay_alu instid0(VALU_DEP_3) | instskip(NEXT) | instid1(VALU_DEP_3)
	v_mul_f64_e32 v[1:2], s[0:1], v[1:2]
	v_mul_f64_e32 v[3:4], s[0:1], v[3:4]
	s_delay_alu instid0(VALU_DEP_2) | instskip(NEXT) | instid1(VALU_DEP_2)
	v_cvt_f32_f64_e32 v1, v[1:2]
	v_cvt_f32_f64_e32 v2, v[3:4]
	v_dual_mov_b32 v4, v8 :: v_dual_mov_b32 v3, v6
	s_delay_alu instid0(VALU_DEP_1) | instskip(SKIP_1) | instid1(VALU_DEP_2)
	v_mad_co_u64_u32 v[8:9], null, s7, v84, v[3:4]
	v_mad_co_u64_u32 v[3:4], null, s5, v98, v[4:5]
	v_mov_b32_e32 v6, v8
	s_delay_alu instid0(VALU_DEP_2) | instskip(NEXT) | instid1(VALU_DEP_2)
	v_mov_b32_e32 v8, v3
	v_lshlrev_b64_e32 v[3:4], 3, v[5:6]
	s_delay_alu instid0(VALU_DEP_2) | instskip(NEXT) | instid1(VALU_DEP_2)
	v_lshlrev_b64_e32 v[5:6], 3, v[7:8]
	v_add_co_u32 v3, vcc_lo, s12, v3
	s_delay_alu instid0(VALU_DEP_3) | instskip(NEXT) | instid1(VALU_DEP_2)
	v_add_co_ci_u32_e32 v4, vcc_lo, s13, v4, vcc_lo
	v_add_co_u32 v5, vcc_lo, v3, v5
	s_wait_alu 0xfffd
	s_delay_alu instid0(VALU_DEP_2)
	v_add_co_ci_u32_e32 v6, vcc_lo, v4, v6, vcc_lo
	global_store_b64 v[5:6], v[1:2], off
	global_load_b64 v[7:8], v97, s[8:9] offset:440
	ds_load_2addr_b64 v[1:4], v0 offset0:55 offset1:110
	v_add_co_u32 v5, vcc_lo, v5, s2
	s_wait_alu 0xfffd
	v_add_co_ci_u32_e32 v6, vcc_lo, s3, v6, vcc_lo
	s_wait_loadcnt_dscnt 0x0
	v_mul_f32_e32 v9, v2, v8
	v_mul_f32_e32 v8, v1, v8
	s_delay_alu instid0(VALU_DEP_2) | instskip(NEXT) | instid1(VALU_DEP_2)
	v_fmac_f32_e32 v9, v1, v7
	v_fma_f32 v7, v7, v2, -v8
	s_delay_alu instid0(VALU_DEP_2) | instskip(NEXT) | instid1(VALU_DEP_2)
	v_cvt_f64_f32_e32 v[1:2], v9
	v_cvt_f64_f32_e32 v[7:8], v7
	s_delay_alu instid0(VALU_DEP_2) | instskip(NEXT) | instid1(VALU_DEP_2)
	v_mul_f64_e32 v[1:2], s[0:1], v[1:2]
	v_mul_f64_e32 v[7:8], s[0:1], v[7:8]
	s_delay_alu instid0(VALU_DEP_2) | instskip(NEXT) | instid1(VALU_DEP_2)
	v_cvt_f32_f64_e32 v1, v[1:2]
	v_cvt_f32_f64_e32 v2, v[7:8]
	global_store_b64 v[5:6], v[1:2], off
	global_load_b64 v[1:2], v97, s[8:9] offset:880
	v_add_co_u32 v5, vcc_lo, v5, s2
	s_wait_alu 0xfffd
	v_add_co_ci_u32_e32 v6, vcc_lo, s3, v6, vcc_lo
	s_wait_loadcnt 0x0
	v_mul_f32_e32 v7, v4, v2
	v_mul_f32_e32 v2, v3, v2
	s_delay_alu instid0(VALU_DEP_2) | instskip(NEXT) | instid1(VALU_DEP_2)
	v_fmac_f32_e32 v7, v3, v1
	v_fma_f32 v3, v1, v4, -v2
	s_delay_alu instid0(VALU_DEP_2) | instskip(NEXT) | instid1(VALU_DEP_2)
	v_cvt_f64_f32_e32 v[1:2], v7
	v_cvt_f64_f32_e32 v[3:4], v3
	s_delay_alu instid0(VALU_DEP_2) | instskip(NEXT) | instid1(VALU_DEP_2)
	v_mul_f64_e32 v[1:2], s[0:1], v[1:2]
	v_mul_f64_e32 v[3:4], s[0:1], v[3:4]
	s_delay_alu instid0(VALU_DEP_2) | instskip(NEXT) | instid1(VALU_DEP_2)
	v_cvt_f32_f64_e32 v1, v[1:2]
	v_cvt_f32_f64_e32 v2, v[3:4]
	global_store_b64 v[5:6], v[1:2], off
	global_load_b64 v[7:8], v97, s[8:9] offset:1320
	ds_load_2addr_b64 v[1:4], v0 offset0:165 offset1:220
	v_add_co_u32 v5, vcc_lo, v5, s2
	s_wait_alu 0xfffd
	v_add_co_ci_u32_e32 v6, vcc_lo, s3, v6, vcc_lo
	s_wait_loadcnt_dscnt 0x0
	v_mul_f32_e32 v9, v2, v8
	v_mul_f32_e32 v8, v1, v8
	s_delay_alu instid0(VALU_DEP_2) | instskip(NEXT) | instid1(VALU_DEP_2)
	v_fmac_f32_e32 v9, v1, v7
	v_fma_f32 v7, v7, v2, -v8
	s_delay_alu instid0(VALU_DEP_2) | instskip(NEXT) | instid1(VALU_DEP_2)
	v_cvt_f64_f32_e32 v[1:2], v9
	v_cvt_f64_f32_e32 v[7:8], v7
	s_delay_alu instid0(VALU_DEP_2) | instskip(NEXT) | instid1(VALU_DEP_2)
	v_mul_f64_e32 v[1:2], s[0:1], v[1:2]
	v_mul_f64_e32 v[7:8], s[0:1], v[7:8]
	s_delay_alu instid0(VALU_DEP_2) | instskip(NEXT) | instid1(VALU_DEP_2)
	v_cvt_f32_f64_e32 v1, v[1:2]
	v_cvt_f32_f64_e32 v2, v[7:8]
	global_store_b64 v[5:6], v[1:2], off
	global_load_b64 v[1:2], v97, s[8:9] offset:1760
	v_add_co_u32 v5, vcc_lo, v5, s2
	s_wait_alu 0xfffd
	v_add_co_ci_u32_e32 v6, vcc_lo, s3, v6, vcc_lo
	s_wait_loadcnt 0x0
	v_mul_f32_e32 v7, v4, v2
	v_mul_f32_e32 v2, v3, v2
	s_delay_alu instid0(VALU_DEP_2) | instskip(NEXT) | instid1(VALU_DEP_2)
	v_fmac_f32_e32 v7, v3, v1
	v_fma_f32 v3, v1, v4, -v2
	s_delay_alu instid0(VALU_DEP_2) | instskip(NEXT) | instid1(VALU_DEP_2)
	v_cvt_f64_f32_e32 v[1:2], v7
	v_cvt_f64_f32_e32 v[3:4], v3
	s_delay_alu instid0(VALU_DEP_2) | instskip(NEXT) | instid1(VALU_DEP_2)
	v_mul_f64_e32 v[1:2], s[0:1], v[1:2]
	v_mul_f64_e32 v[3:4], s[0:1], v[3:4]
	s_delay_alu instid0(VALU_DEP_2) | instskip(NEXT) | instid1(VALU_DEP_2)
	v_cvt_f32_f64_e32 v1, v[1:2]
	v_cvt_f32_f64_e32 v2, v[3:4]
	global_store_b64 v[5:6], v[1:2], off
	global_load_b64 v[7:8], v97, s[8:9] offset:2200
	v_add_nc_u32_e32 v9, 0x800, v0
	v_add_co_u32 v5, vcc_lo, v5, s2
	s_wait_alu 0xfffd
	v_add_co_ci_u32_e32 v6, vcc_lo, s3, v6, vcc_lo
	ds_load_2addr_b64 v[1:4], v9 offset0:19 offset1:74
	s_wait_loadcnt_dscnt 0x0
	v_mul_f32_e32 v10, v2, v8
	v_mul_f32_e32 v8, v1, v8
	s_delay_alu instid0(VALU_DEP_2) | instskip(NEXT) | instid1(VALU_DEP_2)
	v_fmac_f32_e32 v10, v1, v7
	v_fma_f32 v7, v7, v2, -v8
	s_delay_alu instid0(VALU_DEP_2) | instskip(NEXT) | instid1(VALU_DEP_2)
	v_cvt_f64_f32_e32 v[1:2], v10
	v_cvt_f64_f32_e32 v[7:8], v7
	s_delay_alu instid0(VALU_DEP_2) | instskip(NEXT) | instid1(VALU_DEP_2)
	v_mul_f64_e32 v[1:2], s[0:1], v[1:2]
	v_mul_f64_e32 v[7:8], s[0:1], v[7:8]
	s_delay_alu instid0(VALU_DEP_2) | instskip(NEXT) | instid1(VALU_DEP_2)
	v_cvt_f32_f64_e32 v1, v[1:2]
	v_cvt_f32_f64_e32 v2, v[7:8]
	global_store_b64 v[5:6], v[1:2], off
	global_load_b64 v[1:2], v97, s[8:9] offset:2640
	v_add_co_u32 v5, vcc_lo, v5, s2
	s_wait_alu 0xfffd
	v_add_co_ci_u32_e32 v6, vcc_lo, s3, v6, vcc_lo
	s_wait_loadcnt 0x0
	v_mul_f32_e32 v7, v4, v2
	v_mul_f32_e32 v2, v3, v2
	s_delay_alu instid0(VALU_DEP_2) | instskip(NEXT) | instid1(VALU_DEP_2)
	v_fmac_f32_e32 v7, v3, v1
	v_fma_f32 v3, v1, v4, -v2
	s_delay_alu instid0(VALU_DEP_2) | instskip(NEXT) | instid1(VALU_DEP_2)
	v_cvt_f64_f32_e32 v[1:2], v7
	v_cvt_f64_f32_e32 v[3:4], v3
	s_delay_alu instid0(VALU_DEP_2) | instskip(NEXT) | instid1(VALU_DEP_2)
	v_mul_f64_e32 v[1:2], s[0:1], v[1:2]
	v_mul_f64_e32 v[3:4], s[0:1], v[3:4]
	s_delay_alu instid0(VALU_DEP_2) | instskip(NEXT) | instid1(VALU_DEP_2)
	v_cvt_f32_f64_e32 v1, v[1:2]
	v_cvt_f32_f64_e32 v2, v[3:4]
	global_store_b64 v[5:6], v[1:2], off
	global_load_b64 v[7:8], v97, s[8:9] offset:3080
	ds_load_2addr_b64 v[1:4], v9 offset0:129 offset1:184
	v_add_co_u32 v5, vcc_lo, v5, s2
	s_wait_alu 0xfffd
	v_add_co_ci_u32_e32 v6, vcc_lo, s3, v6, vcc_lo
	s_wait_loadcnt_dscnt 0x0
	v_mul_f32_e32 v9, v2, v8
	v_mul_f32_e32 v8, v1, v8
	s_delay_alu instid0(VALU_DEP_2) | instskip(NEXT) | instid1(VALU_DEP_2)
	v_fmac_f32_e32 v9, v1, v7
	v_fma_f32 v7, v7, v2, -v8
	s_delay_alu instid0(VALU_DEP_2) | instskip(NEXT) | instid1(VALU_DEP_2)
	v_cvt_f64_f32_e32 v[1:2], v9
	v_cvt_f64_f32_e32 v[7:8], v7
	s_delay_alu instid0(VALU_DEP_2) | instskip(NEXT) | instid1(VALU_DEP_2)
	v_mul_f64_e32 v[1:2], s[0:1], v[1:2]
	v_mul_f64_e32 v[7:8], s[0:1], v[7:8]
	s_delay_alu instid0(VALU_DEP_2) | instskip(NEXT) | instid1(VALU_DEP_2)
	v_cvt_f32_f64_e32 v1, v[1:2]
	v_cvt_f32_f64_e32 v2, v[7:8]
	global_store_b64 v[5:6], v[1:2], off
	global_load_b64 v[1:2], v97, s[8:9] offset:3520
	v_add_co_u32 v5, vcc_lo, v5, s2
	s_wait_alu 0xfffd
	v_add_co_ci_u32_e32 v6, vcc_lo, s3, v6, vcc_lo
	s_wait_loadcnt 0x0
	v_mul_f32_e32 v7, v4, v2
	v_mul_f32_e32 v2, v3, v2
	s_delay_alu instid0(VALU_DEP_2) | instskip(NEXT) | instid1(VALU_DEP_2)
	v_fmac_f32_e32 v7, v3, v1
	v_fma_f32 v3, v1, v4, -v2
	s_delay_alu instid0(VALU_DEP_2) | instskip(NEXT) | instid1(VALU_DEP_2)
	v_cvt_f64_f32_e32 v[1:2], v7
	v_cvt_f64_f32_e32 v[3:4], v3
	s_delay_alu instid0(VALU_DEP_2) | instskip(NEXT) | instid1(VALU_DEP_2)
	v_mul_f64_e32 v[1:2], s[0:1], v[1:2]
	v_mul_f64_e32 v[3:4], s[0:1], v[3:4]
	s_delay_alu instid0(VALU_DEP_2) | instskip(NEXT) | instid1(VALU_DEP_2)
	v_cvt_f32_f64_e32 v1, v[1:2]
	v_cvt_f32_f64_e32 v2, v[3:4]
	global_store_b64 v[5:6], v[1:2], off
	global_load_b64 v[7:8], v97, s[8:9] offset:3960
	v_add_nc_u32_e32 v1, 0xc00, v0
	v_add_co_u32 v5, vcc_lo, v5, s2
	s_wait_alu 0xfffd
	v_add_co_ci_u32_e32 v6, vcc_lo, s3, v6, vcc_lo
	ds_load_2addr_b64 v[1:4], v1 offset0:111 offset1:166
	s_wait_loadcnt_dscnt 0x0
	v_mul_f32_e32 v9, v2, v8
	v_mul_f32_e32 v8, v1, v8
	s_delay_alu instid0(VALU_DEP_2) | instskip(NEXT) | instid1(VALU_DEP_2)
	v_fmac_f32_e32 v9, v1, v7
	v_fma_f32 v7, v7, v2, -v8
	s_delay_alu instid0(VALU_DEP_2) | instskip(NEXT) | instid1(VALU_DEP_2)
	v_cvt_f64_f32_e32 v[1:2], v9
	v_cvt_f64_f32_e32 v[7:8], v7
	s_delay_alu instid0(VALU_DEP_2) | instskip(NEXT) | instid1(VALU_DEP_2)
	v_mul_f64_e32 v[1:2], s[0:1], v[1:2]
	v_mul_f64_e32 v[7:8], s[0:1], v[7:8]
	s_delay_alu instid0(VALU_DEP_2) | instskip(NEXT) | instid1(VALU_DEP_2)
	v_cvt_f32_f64_e32 v1, v[1:2]
	v_cvt_f32_f64_e32 v2, v[7:8]
	global_store_b64 v[5:6], v[1:2], off
	global_load_b64 v[1:2], v97, s[8:9] offset:4400
	v_add_co_u32 v5, vcc_lo, v5, s2
	s_wait_alu 0xfffd
	v_add_co_ci_u32_e32 v6, vcc_lo, s3, v6, vcc_lo
	s_wait_loadcnt 0x0
	v_mul_f32_e32 v7, v4, v2
	v_mul_f32_e32 v2, v3, v2
	s_delay_alu instid0(VALU_DEP_2) | instskip(NEXT) | instid1(VALU_DEP_2)
	v_fmac_f32_e32 v7, v3, v1
	v_fma_f32 v3, v1, v4, -v2
	s_delay_alu instid0(VALU_DEP_2) | instskip(NEXT) | instid1(VALU_DEP_2)
	v_cvt_f64_f32_e32 v[1:2], v7
	v_cvt_f64_f32_e32 v[3:4], v3
	s_delay_alu instid0(VALU_DEP_2) | instskip(NEXT) | instid1(VALU_DEP_2)
	v_mul_f64_e32 v[1:2], s[0:1], v[1:2]
	v_mul_f64_e32 v[3:4], s[0:1], v[3:4]
	s_delay_alu instid0(VALU_DEP_2) | instskip(NEXT) | instid1(VALU_DEP_2)
	v_cvt_f32_f64_e32 v1, v[1:2]
	v_cvt_f32_f64_e32 v2, v[3:4]
	global_store_b64 v[5:6], v[1:2], off
	global_load_b64 v[7:8], v97, s[8:9] offset:4840
	v_add_nc_u32_e32 v1, 0x1000, v0
	v_add_co_u32 v5, vcc_lo, v5, s2
	s_wait_alu 0xfffd
	v_add_co_ci_u32_e32 v6, vcc_lo, s3, v6, vcc_lo
	ds_load_2addr_b64 v[1:4], v1 offset0:93 offset1:148
	;; [unrolled: 42-line block ×3, first 2 shown]
	v_add_nc_u32_e32 v0, 0x1800, v0
	s_wait_loadcnt_dscnt 0x0
	v_mul_f32_e32 v9, v2, v8
	v_mul_f32_e32 v8, v1, v8
	s_delay_alu instid0(VALU_DEP_2) | instskip(NEXT) | instid1(VALU_DEP_2)
	v_fmac_f32_e32 v9, v1, v7
	v_fma_f32 v7, v7, v2, -v8
	s_delay_alu instid0(VALU_DEP_2) | instskip(NEXT) | instid1(VALU_DEP_2)
	v_cvt_f64_f32_e32 v[1:2], v9
	v_cvt_f64_f32_e32 v[7:8], v7
	s_delay_alu instid0(VALU_DEP_2) | instskip(NEXT) | instid1(VALU_DEP_2)
	v_mul_f64_e32 v[1:2], s[0:1], v[1:2]
	v_mul_f64_e32 v[7:8], s[0:1], v[7:8]
	s_delay_alu instid0(VALU_DEP_2) | instskip(NEXT) | instid1(VALU_DEP_2)
	v_cvt_f32_f64_e32 v1, v[1:2]
	v_cvt_f32_f64_e32 v2, v[7:8]
	global_store_b64 v[5:6], v[1:2], off
	global_load_b64 v[1:2], v97, s[8:9] offset:6160
	s_wait_loadcnt 0x0
	v_mul_f32_e32 v7, v4, v2
	v_mul_f32_e32 v2, v3, v2
	s_delay_alu instid0(VALU_DEP_2) | instskip(NEXT) | instid1(VALU_DEP_2)
	v_fmac_f32_e32 v7, v3, v1
	v_fma_f32 v3, v1, v4, -v2
	s_delay_alu instid0(VALU_DEP_2) | instskip(NEXT) | instid1(VALU_DEP_2)
	v_cvt_f64_f32_e32 v[1:2], v7
	v_cvt_f64_f32_e32 v[3:4], v3
	s_delay_alu instid0(VALU_DEP_2) | instskip(NEXT) | instid1(VALU_DEP_2)
	v_mul_f64_e32 v[1:2], s[0:1], v[1:2]
	v_mul_f64_e32 v[3:4], s[0:1], v[3:4]
	s_delay_alu instid0(VALU_DEP_2) | instskip(NEXT) | instid1(VALU_DEP_2)
	v_cvt_f32_f64_e32 v1, v[1:2]
	v_cvt_f32_f64_e32 v2, v[3:4]
	v_add_co_u32 v4, vcc_lo, v5, s2
	s_wait_alu 0xfffd
	v_add_co_ci_u32_e32 v5, vcc_lo, s3, v6, vcc_lo
	global_store_b64 v[4:5], v[1:2], off
	global_load_b64 v[6:7], v97, s[8:9] offset:6600
	ds_load_2addr_b64 v[0:3], v0 offset0:57 offset1:112
	v_add_co_u32 v4, vcc_lo, v4, s2
	s_wait_alu 0xfffd
	v_add_co_ci_u32_e32 v5, vcc_lo, s3, v5, vcc_lo
	s_wait_loadcnt_dscnt 0x0
	v_mul_f32_e32 v8, v1, v7
	v_mul_f32_e32 v7, v0, v7
	s_delay_alu instid0(VALU_DEP_2) | instskip(NEXT) | instid1(VALU_DEP_2)
	v_fmac_f32_e32 v8, v0, v6
	v_fma_f32 v6, v6, v1, -v7
	s_delay_alu instid0(VALU_DEP_2) | instskip(NEXT) | instid1(VALU_DEP_2)
	v_cvt_f64_f32_e32 v[0:1], v8
	v_cvt_f64_f32_e32 v[6:7], v6
	s_delay_alu instid0(VALU_DEP_2) | instskip(NEXT) | instid1(VALU_DEP_2)
	v_mul_f64_e32 v[0:1], s[0:1], v[0:1]
	v_mul_f64_e32 v[6:7], s[0:1], v[6:7]
	s_delay_alu instid0(VALU_DEP_2) | instskip(NEXT) | instid1(VALU_DEP_2)
	v_cvt_f32_f64_e32 v0, v[0:1]
	v_cvt_f32_f64_e32 v1, v[6:7]
	global_store_b64 v[4:5], v[0:1], off
	global_load_b64 v[0:1], v97, s[8:9] offset:7040
	s_wait_loadcnt 0x0
	v_mul_f32_e32 v6, v3, v1
	v_mul_f32_e32 v1, v2, v1
	s_delay_alu instid0(VALU_DEP_2) | instskip(NEXT) | instid1(VALU_DEP_2)
	v_fmac_f32_e32 v6, v2, v0
	v_fma_f32 v2, v0, v3, -v1
	s_delay_alu instid0(VALU_DEP_2) | instskip(NEXT) | instid1(VALU_DEP_2)
	v_cvt_f64_f32_e32 v[0:1], v6
	v_cvt_f64_f32_e32 v[2:3], v2
	s_delay_alu instid0(VALU_DEP_2) | instskip(NEXT) | instid1(VALU_DEP_2)
	v_mul_f64_e32 v[0:1], s[0:1], v[0:1]
	v_mul_f64_e32 v[2:3], s[0:1], v[2:3]
	s_delay_alu instid0(VALU_DEP_2) | instskip(NEXT) | instid1(VALU_DEP_2)
	v_cvt_f32_f64_e32 v0, v[0:1]
	v_cvt_f32_f64_e32 v1, v[2:3]
	v_add_co_u32 v2, vcc_lo, v4, s2
	s_wait_alu 0xfffd
	v_add_co_ci_u32_e32 v3, vcc_lo, s3, v5, vcc_lo
	global_store_b64 v[2:3], v[0:1], off
.LBB0_23:
	s_nop 0
	s_sendmsg sendmsg(MSG_DEALLOC_VGPRS)
	s_endpgm
	.section	.rodata,"a",@progbits
	.p2align	6, 0x0
	.amdhsa_kernel bluestein_single_fwd_len935_dim1_sp_op_CI_CI
		.amdhsa_group_segment_fixed_size 22440
		.amdhsa_private_segment_fixed_size 0
		.amdhsa_kernarg_size 104
		.amdhsa_user_sgpr_count 2
		.amdhsa_user_sgpr_dispatch_ptr 0
		.amdhsa_user_sgpr_queue_ptr 0
		.amdhsa_user_sgpr_kernarg_segment_ptr 1
		.amdhsa_user_sgpr_dispatch_id 0
		.amdhsa_user_sgpr_private_segment_size 0
		.amdhsa_wavefront_size32 1
		.amdhsa_uses_dynamic_stack 0
		.amdhsa_enable_private_segment 0
		.amdhsa_system_sgpr_workgroup_id_x 1
		.amdhsa_system_sgpr_workgroup_id_y 0
		.amdhsa_system_sgpr_workgroup_id_z 0
		.amdhsa_system_sgpr_workgroup_info 0
		.amdhsa_system_vgpr_workitem_id 0
		.amdhsa_next_free_vgpr 256
		.amdhsa_next_free_sgpr 14
		.amdhsa_reserve_vcc 1
		.amdhsa_float_round_mode_32 0
		.amdhsa_float_round_mode_16_64 0
		.amdhsa_float_denorm_mode_32 3
		.amdhsa_float_denorm_mode_16_64 3
		.amdhsa_fp16_overflow 0
		.amdhsa_workgroup_processor_mode 1
		.amdhsa_memory_ordered 1
		.amdhsa_forward_progress 0
		.amdhsa_round_robin_scheduling 0
		.amdhsa_exception_fp_ieee_invalid_op 0
		.amdhsa_exception_fp_denorm_src 0
		.amdhsa_exception_fp_ieee_div_zero 0
		.amdhsa_exception_fp_ieee_overflow 0
		.amdhsa_exception_fp_ieee_underflow 0
		.amdhsa_exception_fp_ieee_inexact 0
		.amdhsa_exception_int_div_zero 0
	.end_amdhsa_kernel
	.text
.Lfunc_end0:
	.size	bluestein_single_fwd_len935_dim1_sp_op_CI_CI, .Lfunc_end0-bluestein_single_fwd_len935_dim1_sp_op_CI_CI
                                        ; -- End function
	.section	.AMDGPU.csdata,"",@progbits
; Kernel info:
; codeLenInByte = 24292
; NumSgprs: 16
; NumVgprs: 256
; ScratchSize: 0
; MemoryBound: 0
; FloatMode: 240
; IeeeMode: 1
; LDSByteSize: 22440 bytes/workgroup (compile time only)
; SGPRBlocks: 1
; VGPRBlocks: 31
; NumSGPRsForWavesPerEU: 16
; NumVGPRsForWavesPerEU: 256
; Occupancy: 5
; WaveLimiterHint : 1
; COMPUTE_PGM_RSRC2:SCRATCH_EN: 0
; COMPUTE_PGM_RSRC2:USER_SGPR: 2
; COMPUTE_PGM_RSRC2:TRAP_HANDLER: 0
; COMPUTE_PGM_RSRC2:TGID_X_EN: 1
; COMPUTE_PGM_RSRC2:TGID_Y_EN: 0
; COMPUTE_PGM_RSRC2:TGID_Z_EN: 0
; COMPUTE_PGM_RSRC2:TIDIG_COMP_CNT: 0
	.text
	.p2alignl 7, 3214868480
	.fill 96, 4, 3214868480
	.type	__hip_cuid_29b7b69e6e49026a,@object ; @__hip_cuid_29b7b69e6e49026a
	.section	.bss,"aw",@nobits
	.globl	__hip_cuid_29b7b69e6e49026a
__hip_cuid_29b7b69e6e49026a:
	.byte	0                               ; 0x0
	.size	__hip_cuid_29b7b69e6e49026a, 1

	.ident	"AMD clang version 19.0.0git (https://github.com/RadeonOpenCompute/llvm-project roc-6.4.0 25133 c7fe45cf4b819c5991fe208aaa96edf142730f1d)"
	.section	".note.GNU-stack","",@progbits
	.addrsig
	.addrsig_sym __hip_cuid_29b7b69e6e49026a
	.amdgpu_metadata
---
amdhsa.kernels:
  - .args:
      - .actual_access:  read_only
        .address_space:  global
        .offset:         0
        .size:           8
        .value_kind:     global_buffer
      - .actual_access:  read_only
        .address_space:  global
        .offset:         8
        .size:           8
        .value_kind:     global_buffer
      - .actual_access:  read_only
        .address_space:  global
        .offset:         16
        .size:           8
        .value_kind:     global_buffer
      - .actual_access:  read_only
        .address_space:  global
        .offset:         24
        .size:           8
        .value_kind:     global_buffer
      - .actual_access:  read_only
        .address_space:  global
        .offset:         32
        .size:           8
        .value_kind:     global_buffer
      - .offset:         40
        .size:           8
        .value_kind:     by_value
      - .address_space:  global
        .offset:         48
        .size:           8
        .value_kind:     global_buffer
      - .address_space:  global
        .offset:         56
        .size:           8
        .value_kind:     global_buffer
      - .address_space:  global
        .offset:         64
        .size:           8
        .value_kind:     global_buffer
      - .address_space:  global
        .offset:         72
        .size:           8
        .value_kind:     global_buffer
      - .offset:         80
        .size:           4
        .value_kind:     by_value
      - .address_space:  global
        .offset:         88
        .size:           8
        .value_kind:     global_buffer
      - .address_space:  global
        .offset:         96
        .size:           8
        .value_kind:     global_buffer
    .group_segment_fixed_size: 22440
    .kernarg_segment_align: 8
    .kernarg_segment_size: 104
    .language:       OpenCL C
    .language_version:
      - 2
      - 0
    .max_flat_workgroup_size: 255
    .name:           bluestein_single_fwd_len935_dim1_sp_op_CI_CI
    .private_segment_fixed_size: 0
    .sgpr_count:     16
    .sgpr_spill_count: 0
    .symbol:         bluestein_single_fwd_len935_dim1_sp_op_CI_CI.kd
    .uniform_work_group_size: 1
    .uses_dynamic_stack: false
    .vgpr_count:     256
    .vgpr_spill_count: 0
    .wavefront_size: 32
    .workgroup_processor_mode: 1
amdhsa.target:   amdgcn-amd-amdhsa--gfx1201
amdhsa.version:
  - 1
  - 2
...

	.end_amdgpu_metadata
